;; amdgpu-corpus repo=ROCm/rocFFT kind=compiled arch=gfx1201 opt=O3
	.text
	.amdgcn_target "amdgcn-amd-amdhsa--gfx1201"
	.amdhsa_code_object_version 6
	.protected	bluestein_single_fwd_len3456_dim1_dp_op_CI_CI ; -- Begin function bluestein_single_fwd_len3456_dim1_dp_op_CI_CI
	.globl	bluestein_single_fwd_len3456_dim1_dp_op_CI_CI
	.p2align	8
	.type	bluestein_single_fwd_len3456_dim1_dp_op_CI_CI,@function
bluestein_single_fwd_len3456_dim1_dp_op_CI_CI: ; @bluestein_single_fwd_len3456_dim1_dp_op_CI_CI
; %bb.0:
	s_load_b128 s[16:19], s[0:1], 0x28
	v_mul_u32_u24_e32 v1, 0x1c8, v0
	s_mov_b32 s2, exec_lo
	v_mov_b32_e32 v3, 0
	s_delay_alu instid0(VALU_DEP_2) | instskip(NEXT) | instid1(VALU_DEP_1)
	v_lshrrev_b32_e32 v1, 16, v1
	v_add_nc_u32_e32 v2, ttmp9, v1
	s_wait_kmcnt 0x0
	s_delay_alu instid0(VALU_DEP_1)
	v_cmpx_gt_u64_e64 s[16:17], v[2:3]
	s_cbranch_execz .LBB0_2
; %bb.1:
	s_clause 0x1
	s_load_b128 s[4:7], s[0:1], 0x18
	s_load_b128 s[8:11], s[0:1], 0x0
	v_mul_lo_u16 v1, 0x90, v1
	s_mov_b32 s2, 0xffff5500
	s_mov_b32 s3, -1
	s_load_b64 s[0:1], s[0:1], 0x38
	v_mov_b32_e32 v4, v2
	v_sub_nc_u16 v93, v0, v1
	scratch_store_b64 off, v[4:5], off      ; 8-byte Folded Spill
	v_and_b32_e32 v7, 0xffff, v93
	s_wait_kmcnt 0x0
	s_load_b128 s[12:15], s[4:5], 0x0
	s_wait_kmcnt 0x0
	v_mad_co_u64_u32 v[0:1], null, s14, v2, 0
	v_mad_co_u64_u32 v[2:3], null, s12, v7, 0
	s_mul_u64 s[4:5], s[12:13], 0x2400
	s_delay_alu instid0(VALU_DEP_1) | instskip(SKIP_2) | instid1(VALU_DEP_2)
	v_mad_co_u64_u32 v[4:5], null, s15, v4, v[1:2]
	v_mov_b32_e32 v134, v7
	s_mov_b32 s15, 0xbfebb67a
	v_mov_b32_e32 v1, v4
	s_delay_alu instid0(VALU_DEP_4) | instskip(NEXT) | instid1(VALU_DEP_3)
	v_mad_co_u64_u32 v[5:6], null, s13, v7, v[3:4]
	v_or_b32_e32 v6, 0x900, v134
	v_lshlrev_b32_e32 v92, 4, v134
	s_delay_alu instid0(VALU_DEP_4) | instskip(NEXT) | instid1(VALU_DEP_3)
	v_lshlrev_b64_e32 v[0:1], 4, v[0:1]
	v_dual_mov_b32 v149, v134 :: v_dual_mov_b32 v8, v6
	v_mov_b32_e32 v3, v5
	v_mad_co_u64_u32 v[4:5], null, s12, v6, 0
	s_delay_alu instid0(VALU_DEP_4) | instskip(NEXT) | instid1(VALU_DEP_3)
	v_add_co_u32 v10, vcc_lo, s18, v0
	v_lshlrev_b64_e32 v[2:3], 4, v[2:3]
	v_add_co_ci_u32_e32 v11, vcc_lo, s19, v1, vcc_lo
	scratch_store_b32 off, v8, off offset:8 ; 4-byte Folded Spill
	v_add_co_u32 v6, vcc_lo, v10, v2
	s_wait_alu 0xfffd
	v_add_co_ci_u32_e32 v7, vcc_lo, v11, v3, vcc_lo
	global_load_b128 v[32:35], v92, s[8:9]
	global_load_b128 v[0:3], v[6:7], off
	v_mad_co_u64_u32 v[8:9], null, s13, v8, v[5:6]
	s_delay_alu instid0(VALU_DEP_1) | instskip(NEXT) | instid1(VALU_DEP_1)
	v_mov_b32_e32 v5, v8
	v_lshlrev_b64_e32 v[4:5], 4, v[4:5]
	s_delay_alu instid0(VALU_DEP_1) | instskip(SKIP_1) | instid1(VALU_DEP_2)
	v_add_co_u32 v4, vcc_lo, v10, v4
	s_wait_alu 0xfffd
	v_add_co_ci_u32_e32 v5, vcc_lo, v11, v5, vcc_lo
	v_add_co_u32 v12, vcc_lo, v6, s4
	s_wait_alu 0xfffd
	v_add_co_ci_u32_e32 v13, vcc_lo, s5, v7, vcc_lo
	global_load_b128 v[36:39], v92, s[8:9] offset:36864
	global_load_b128 v[4:7], v[4:5], off
	global_load_b128 v[40:43], v92, s[8:9] offset:9216
	global_load_b128 v[8:11], v[12:13], off
	v_add_co_u32 v12, vcc_lo, v12, s4
	s_wait_alu 0xfffd
	v_add_co_ci_u32_e32 v13, vcc_lo, s5, v13, vcc_lo
	global_load_b128 v[44:47], v92, s[8:9] offset:18432
	v_add_co_u32 v20, vcc_lo, v12, s4
	s_wait_alu 0xfffd
	v_add_co_ci_u32_e32 v21, vcc_lo, s5, v13, vcc_lo
	global_load_b128 v[12:15], v[12:13], off
	global_load_b128 v[48:51], v92, s[8:9] offset:27648
	global_load_b128 v[16:19], v[20:21], off
	s_wait_loadcnt 0x9
	scratch_store_b128 off, v[32:35], off offset:44 ; 16-byte Folded Spill
	s_wait_loadcnt 0x8
	v_mul_f64_e32 v[22:23], v[2:3], v[34:35]
	v_mul_f64_e32 v[24:25], v[0:1], v[34:35]
	s_wait_loadcnt 0x7
	scratch_store_b128 off, v[36:39], off offset:28 ; 16-byte Folded Spill
	s_wait_loadcnt 0x6
	v_mul_f64_e32 v[28:29], v[4:5], v[38:39]
	v_mul_f64_e32 v[26:27], v[6:7], v[38:39]
	s_wait_loadcnt 0x4
	v_mul_f64_e32 v[30:31], v[10:11], v[42:43]
	s_wait_loadcnt 0x3
	scratch_store_b128 off, v[44:47], off offset:92 ; 16-byte Folded Spill
	s_wait_loadcnt 0x1
	scratch_store_b128 off, v[48:51], off offset:108 ; 16-byte Folded Spill
	v_fma_f64 v[0:1], v[0:1], v[32:33], v[22:23]
	v_mul_f64_e32 v[22:23], v[8:9], v[42:43]
	v_fma_f64 v[2:3], v[2:3], v[32:33], -v[24:25]
	global_load_b128 v[32:35], v92, s[8:9] offset:46080
	v_mul_f64_e32 v[24:25], v[14:15], v[46:47]
	scratch_store_b128 off, v[40:43], off offset:60 ; 16-byte Folded Spill
	v_fma_f64 v[6:7], v[6:7], v[36:37], -v[28:29]
	s_wait_loadcnt 0x1
	v_mul_f64_e32 v[28:29], v[18:19], v[50:51]
	v_fma_f64 v[8:9], v[8:9], v[40:41], v[30:31]
	v_mad_co_u64_u32 v[30:31], null, 0x4800, s12, v[20:21]
	v_fma_f64 v[4:5], v[4:5], v[36:37], v[26:27]
	v_mul_f64_e32 v[26:27], v[12:13], v[46:47]
	s_delay_alu instid0(VALU_DEP_3) | instskip(SKIP_2) | instid1(VALU_DEP_3)
	v_mov_b32_e32 v20, v31
	v_fma_f64 v[10:11], v[10:11], v[40:41], -v[22:23]
	v_mul_f64_e32 v[22:23], v[16:17], v[50:51]
	v_mad_co_u64_u32 v[20:21], null, 0x4800, s13, v[20:21]
	v_fma_f64 v[12:13], v[12:13], v[44:45], v[24:25]
	s_mul_u64 s[12:13], s[12:13], s[2:3]
	s_clause 0x1
	global_load_b128 v[38:41], v92, s[8:9] offset:11520
	global_load_b128 v[50:53], v92, s[8:9] offset:39168
	v_mov_b32_e32 v31, v20
	v_fma_f64 v[16:17], v[16:17], v[48:49], v[28:29]
	s_wait_alu 0xfffe
	v_add_co_u32 v28, vcc_lo, v30, s12
	s_wait_alu 0xfffd
	v_add_co_ci_u32_e32 v29, vcc_lo, s13, v31, vcc_lo
	v_fma_f64 v[14:15], v[14:15], v[44:45], -v[26:27]
	global_load_b128 v[42:45], v92, s[8:9] offset:20736
	v_fma_f64 v[18:19], v[18:19], v[48:49], -v[22:23]
	global_load_b128 v[20:23], v[30:31], off
	global_load_b128 v[46:49], v92, s[8:9] offset:29952
	s_wait_loadcnt 0x5
	scratch_store_b128 off, v[32:35], off offset:76 ; 16-byte Folded Spill
	s_wait_loadcnt 0x4
	scratch_store_b128 off, v[38:41], off offset:140 ; 16-byte Folded Spill
	;; [unrolled: 2-line block ×4, first 2 shown]
	s_wait_loadcnt 0x1
	v_mul_f64_e32 v[24:25], v[22:23], v[34:35]
	s_wait_loadcnt 0x0
	scratch_store_b128 off, v[46:49], off offset:172 ; 16-byte Folded Spill
	v_mul_f64_e32 v[26:27], v[20:21], v[34:35]
	global_load_b128 v[34:37], v92, s[8:9] offset:2304
	v_fma_f64 v[20:21], v[20:21], v[32:33], v[24:25]
	v_fma_f64 v[22:23], v[22:23], v[32:33], -v[26:27]
	global_load_b128 v[24:27], v[28:29], off
	s_wait_loadcnt 0x1
	scratch_store_b128 off, v[34:37], off offset:124 ; 16-byte Folded Spill
	s_wait_loadcnt 0x0
	v_mul_f64_e32 v[32:33], v[24:25], v[36:37]
	v_mul_f64_e32 v[30:31], v[26:27], v[36:37]
	s_delay_alu instid0(VALU_DEP_2) | instskip(SKIP_3) | instid1(VALU_DEP_4)
	v_fma_f64 v[26:27], v[26:27], v[34:35], -v[32:33]
	v_add_co_u32 v32, vcc_lo, v28, s4
	s_wait_alu 0xfffd
	v_add_co_ci_u32_e32 v33, vcc_lo, s5, v29, vcc_lo
	v_fma_f64 v[24:25], v[24:25], v[34:35], v[30:31]
	global_load_b128 v[28:31], v[32:33], off
	s_wait_loadcnt 0x0
	v_mul_f64_e32 v[36:37], v[28:29], v[40:41]
	v_mul_f64_e32 v[34:35], v[30:31], v[40:41]
	s_delay_alu instid0(VALU_DEP_2) | instskip(SKIP_3) | instid1(VALU_DEP_4)
	v_fma_f64 v[30:31], v[30:31], v[38:39], -v[36:37]
	v_add_co_u32 v36, vcc_lo, v32, s4
	s_wait_alu 0xfffd
	v_add_co_ci_u32_e32 v37, vcc_lo, s5, v33, vcc_lo
	v_fma_f64 v[28:29], v[28:29], v[38:39], v[34:35]
	global_load_b128 v[32:35], v[36:37], off
	s_wait_loadcnt 0x0
	v_mul_f64_e32 v[40:41], v[32:33], v[44:45]
	v_mul_f64_e32 v[38:39], v[34:35], v[44:45]
	s_delay_alu instid0(VALU_DEP_2) | instskip(SKIP_3) | instid1(VALU_DEP_4)
	v_fma_f64 v[34:35], v[34:35], v[42:43], -v[40:41]
	v_add_co_u32 v40, vcc_lo, v36, s4
	s_wait_alu 0xfffd
	v_add_co_ci_u32_e32 v41, vcc_lo, s5, v37, vcc_lo
	v_fma_f64 v[32:33], v[32:33], v[42:43], v[38:39]
	global_load_b128 v[36:39], v[40:41], off
	s_wait_loadcnt 0x0
	v_mul_f64_e32 v[44:45], v[36:37], v[48:49]
	v_mul_f64_e32 v[42:43], v[38:39], v[48:49]
	s_delay_alu instid0(VALU_DEP_2) | instskip(SKIP_3) | instid1(VALU_DEP_4)
	v_fma_f64 v[38:39], v[38:39], v[46:47], -v[44:45]
	v_add_co_u32 v44, vcc_lo, v40, s4
	s_wait_alu 0xfffd
	v_add_co_ci_u32_e32 v45, vcc_lo, s5, v41, vcc_lo
	v_fma_f64 v[36:37], v[36:37], v[46:47], v[42:43]
	global_load_b128 v[40:43], v[44:45], off
	s_wait_loadcnt 0x0
	v_mul_f64_e32 v[48:49], v[40:41], v[52:53]
	v_mul_f64_e32 v[46:47], v[42:43], v[52:53]
	s_delay_alu instid0(VALU_DEP_2) | instskip(SKIP_3) | instid1(VALU_DEP_4)
	v_fma_f64 v[42:43], v[42:43], v[50:51], -v[48:49]
	v_add_co_u32 v48, vcc_lo, v44, s4
	s_wait_alu 0xfffd
	v_add_co_ci_u32_e32 v49, vcc_lo, s5, v45, vcc_lo
	v_fma_f64 v[40:41], v[40:41], v[50:51], v[46:47]
	global_load_b128 v[54:57], v92, s[8:9] offset:48384
	global_load_b128 v[44:47], v[48:49], off
	s_clause 0x9
	global_load_b128 v[58:61], v92, s[8:9] offset:4608
	global_load_b128 v[82:85], v92, s[8:9] offset:6912
	;; [unrolled: 1-line block ×10, first 2 shown]
	s_wait_loadcnt 0xb
	scratch_store_b128 off, v[54:57], off offset:204 ; 16-byte Folded Spill
	s_wait_loadcnt 0xa
	v_mul_f64_e32 v[52:53], v[44:45], v[56:57]
	s_wait_loadcnt 0x9
	scratch_store_b128 off, v[58:61], off offset:220 ; 16-byte Folded Spill
	v_mul_f64_e32 v[50:51], v[46:47], v[56:57]
	s_wait_loadcnt 0x7
	s_clause 0x1
	scratch_store_b128 off, v[62:65], off offset:236
	scratch_store_b128 off, v[82:85], off offset:316
	s_wait_loadcnt 0x5
	s_clause 0x1
	scratch_store_b128 off, v[66:69], off offset:252
	scratch_store_b128 off, v[86:89], off offset:332
	s_wait_loadcnt 0x4
	scratch_store_b128 off, v[94:97], off offset:348 ; 16-byte Folded Spill
	s_wait_loadcnt 0x3
	scratch_store_b128 off, v[70:73], off offset:268 ; 16-byte Folded Spill
	;; [unrolled: 2-line block ×5, first 2 shown]
	v_fma_f64 v[46:47], v[46:47], v[54:55], -v[52:53]
	v_add_co_u32 v52, vcc_lo, v48, s12
	s_wait_alu 0xfffd
	v_add_co_ci_u32_e32 v53, vcc_lo, s13, v49, vcc_lo
	v_fma_f64 v[44:45], v[44:45], v[54:55], v[50:51]
	global_load_b128 v[48:51], v[52:53], off
	s_wait_loadcnt 0x0
	v_mul_f64_e32 v[56:57], v[48:49], v[60:61]
	v_mul_f64_e32 v[54:55], v[50:51], v[60:61]
	s_delay_alu instid0(VALU_DEP_2) | instskip(SKIP_3) | instid1(VALU_DEP_4)
	v_fma_f64 v[50:51], v[50:51], v[58:59], -v[56:57]
	v_add_co_u32 v56, vcc_lo, v52, s4
	s_wait_alu 0xfffd
	v_add_co_ci_u32_e32 v57, vcc_lo, s5, v53, vcc_lo
	v_fma_f64 v[48:49], v[48:49], v[58:59], v[54:55]
	global_load_b128 v[52:55], v[56:57], off
	s_wait_loadcnt 0x0
	v_mul_f64_e32 v[60:61], v[52:53], v[64:65]
	v_mul_f64_e32 v[58:59], v[54:55], v[64:65]
	s_delay_alu instid0(VALU_DEP_2) | instskip(SKIP_3) | instid1(VALU_DEP_4)
	;; [unrolled: 10-line block ×6, first 2 shown]
	v_fma_f64 v[70:71], v[70:71], v[78:79], -v[76:77]
	v_add_co_u32 v76, vcc_lo, v72, s12
	s_wait_alu 0xfffd
	v_add_co_ci_u32_e32 v77, vcc_lo, s13, v73, vcc_lo
	v_fma_f64 v[68:69], v[68:69], v[78:79], v[74:75]
	s_mov_b32 s12, 0xe8584caa
	s_mov_b32 s13, 0x3febb67a
	global_load_b128 v[72:75], v[76:77], off
	s_wait_alu 0xfffe
	s_mov_b32 s14, s12
	s_wait_loadcnt 0x0
	v_mul_f64_e32 v[80:81], v[72:73], v[84:85]
	v_mul_f64_e32 v[78:79], v[74:75], v[84:85]
	s_delay_alu instid0(VALU_DEP_2) | instskip(SKIP_3) | instid1(VALU_DEP_4)
	v_fma_f64 v[74:75], v[74:75], v[82:83], -v[80:81]
	v_add_co_u32 v80, vcc_lo, v76, s4
	s_wait_alu 0xfffd
	v_add_co_ci_u32_e32 v81, vcc_lo, s5, v77, vcc_lo
	v_fma_f64 v[72:73], v[72:73], v[82:83], v[78:79]
	global_load_b128 v[76:79], v[80:81], off
	s_wait_loadcnt 0x0
	v_mul_f64_e32 v[84:85], v[76:77], v[88:89]
	v_mul_f64_e32 v[82:83], v[78:79], v[88:89]
	s_delay_alu instid0(VALU_DEP_2) | instskip(SKIP_3) | instid1(VALU_DEP_4)
	v_fma_f64 v[78:79], v[78:79], v[86:87], -v[84:85]
	v_add_co_u32 v84, vcc_lo, v80, s4
	s_wait_alu 0xfffd
	v_add_co_ci_u32_e32 v85, vcc_lo, s5, v81, vcc_lo
	v_fma_f64 v[76:77], v[76:77], v[86:87], v[82:83]
	global_load_b128 v[80:83], v[84:85], off
	s_wait_loadcnt 0x0
	v_mul_f64_e32 v[88:89], v[80:81], v[96:97]
	v_mul_f64_e32 v[86:87], v[82:83], v[96:97]
	global_load_b128 v[96:99], v92, s[8:9] offset:34560
	v_fma_f64 v[82:83], v[82:83], v[94:95], -v[88:89]
	v_add_co_u32 v88, vcc_lo, v84, s4
	s_wait_alu 0xfffd
	v_add_co_ci_u32_e32 v89, vcc_lo, s5, v85, vcc_lo
	v_fma_f64 v[80:81], v[80:81], v[94:95], v[86:87]
	global_load_b128 v[84:87], v[88:89], off
	s_wait_loadcnt 0x1
	scratch_store_b128 off, v[96:99], off offset:364 ; 16-byte Folded Spill
	s_wait_loadcnt 0x0
	v_mul_f64_e32 v[94:95], v[84:85], v[98:99]
	v_mul_f64_e32 v[90:91], v[86:87], v[98:99]
	s_delay_alu instid0(VALU_DEP_2) | instskip(SKIP_3) | instid1(VALU_DEP_4)
	v_fma_f64 v[86:87], v[86:87], v[96:97], -v[94:95]
	v_add_co_u32 v94, vcc_lo, v88, s4
	s_wait_alu 0xfffd
	v_add_co_ci_u32_e32 v95, vcc_lo, s5, v89, vcc_lo
	v_fma_f64 v[84:85], v[84:85], v[96:97], v[90:91]
	global_load_b128 v[88:91], v[94:95], off
	v_add_co_u32 v94, vcc_lo, v94, s4
	s_wait_alu 0xfffd
	v_add_co_ci_u32_e32 v95, vcc_lo, s5, v95, vcc_lo
	v_cmp_gt_u16_e32 vcc_lo, 0x48, v93
	s_wait_loadcnt 0x0
	v_mul_f64_e32 v[96:97], v[90:91], v[102:103]
	v_mul_f64_e32 v[98:99], v[88:89], v[102:103]
	s_delay_alu instid0(VALU_DEP_2)
	v_fma_f64 v[88:89], v[88:89], v[100:101], v[96:97]
	global_load_b128 v[94:97], v[94:95], off
	global_load_b128 v[102:105], v92, s[8:9] offset:52992
	v_fma_f64 v[90:91], v[90:91], v[100:101], -v[98:99]
	s_wait_loadcnt 0x0
	v_mul_f64_e32 v[98:99], v[96:97], v[104:105]
	v_mul_f64_e32 v[100:101], v[94:95], v[104:105]
	scratch_store_b128 off, v[102:105], off offset:12 ; 16-byte Folded Spill
	v_fma_f64 v[94:95], v[94:95], v[102:103], v[98:99]
	v_fma_f64 v[96:97], v[96:97], v[102:103], -v[100:101]
	ds_store_b128 v92, v[0:3]
	ds_store_b128 v92, v[4:7] offset:36864
	ds_store_b128 v92, v[8:11] offset:9216
	;; [unrolled: 1-line block ×23, first 2 shown]
	s_load_b128 s[4:7], s[6:7], 0x0
	global_wb scope:SCOPE_SE
	s_wait_storecnt_dscnt 0x0
	s_wait_kmcnt 0x0
	s_barrier_signal -1
	s_barrier_wait -1
	global_inv scope:SCOPE_SE
	ds_load_b128 v[0:3], v92
	ds_load_b128 v[4:7], v92 offset:18432
	ds_load_b128 v[8:11], v92 offset:36864
	s_mul_u64 s[2:3], s[4:5], s[2:3]
	s_wait_dscnt 0x1
	v_add_f64_e32 v[12:13], v[0:1], v[4:5]
	v_add_f64_e32 v[14:15], v[2:3], v[6:7]
	s_wait_dscnt 0x0
	v_add_f64_e32 v[60:61], v[4:5], v[8:9]
	v_add_f64_e64 v[40:41], v[6:7], -v[10:11]
	v_add_f64_e32 v[62:63], v[6:7], v[10:11]
	v_add_f64_e64 v[42:43], v[4:5], -v[8:9]
	v_add_f64_e32 v[56:57], v[12:13], v[8:9]
	v_add_f64_e32 v[58:59], v[14:15], v[10:11]
	ds_load_b128 v[4:7], v92 offset:9216
	ds_load_b128 v[8:11], v92 offset:27648
	;; [unrolled: 1-line block ×3, first 2 shown]
	v_fma_f64 v[60:61], v[60:61], -0.5, v[0:1]
	v_fma_f64 v[62:63], v[62:63], -0.5, v[2:3]
	s_wait_dscnt 0x1
	v_add_f64_e32 v[16:17], v[4:5], v[8:9]
	v_add_f64_e32 v[18:19], v[6:7], v[10:11]
	s_wait_dscnt 0x0
	v_add_f64_e32 v[72:73], v[8:9], v[12:13]
	v_add_f64_e64 v[54:55], v[10:11], -v[14:15]
	v_add_f64_e32 v[74:75], v[10:11], v[14:15]
	v_add_f64_e64 v[52:53], v[8:9], -v[12:13]
	v_add_f64_e32 v[68:69], v[16:17], v[12:13]
	v_add_f64_e32 v[70:71], v[18:19], v[14:15]
	ds_load_b128 v[8:11], v92 offset:2304
	ds_load_b128 v[12:15], v92 offset:20736
	;; [unrolled: 1-line block ×3, first 2 shown]
	v_fma_f64 v[72:73], v[72:73], -0.5, v[4:5]
	v_fma_f64 v[74:75], v[74:75], -0.5, v[6:7]
	s_wait_dscnt 0x1
	v_add_f64_e32 v[20:21], v[8:9], v[12:13]
	v_add_f64_e32 v[22:23], v[10:11], v[14:15]
	s_wait_dscnt 0x0
	v_add_f64_e32 v[80:81], v[12:13], v[16:17]
	v_add_f64_e64 v[36:37], v[14:15], -v[18:19]
	v_add_f64_e32 v[82:83], v[14:15], v[18:19]
	v_add_f64_e64 v[38:39], v[12:13], -v[16:17]
	v_add_f64_e32 v[0:1], v[56:57], v[68:69]
	v_add_f64_e32 v[2:3], v[58:59], v[70:71]
	v_add_f64_e64 v[4:5], v[56:57], -v[68:69]
	v_add_f64_e64 v[6:7], v[58:59], -v[70:71]
	v_add_f64_e32 v[64:65], v[20:21], v[16:17]
	v_add_f64_e32 v[66:67], v[22:23], v[18:19]
	ds_load_b128 v[12:15], v92 offset:11520
	ds_load_b128 v[16:19], v92 offset:29952
	;; [unrolled: 1-line block ×3, first 2 shown]
	v_fma_f64 v[80:81], v[80:81], -0.5, v[8:9]
	v_fma_f64 v[82:83], v[82:83], -0.5, v[10:11]
	s_wait_dscnt 0x1
	v_add_f64_e32 v[24:25], v[12:13], v[16:17]
	v_add_f64_e32 v[26:27], v[14:15], v[18:19]
	s_wait_dscnt 0x0
	v_add_f64_e32 v[88:89], v[16:17], v[20:21]
	v_add_f64_e64 v[50:51], v[18:19], -v[22:23]
	v_add_f64_e32 v[90:91], v[18:19], v[22:23]
	v_add_f64_e64 v[48:49], v[16:17], -v[20:21]
	v_add_f64_e32 v[76:77], v[24:25], v[20:21]
	v_add_f64_e32 v[78:79], v[26:27], v[22:23]
	ds_load_b128 v[16:19], v92 offset:4608
	ds_load_b128 v[20:23], v92 offset:23040
	;; [unrolled: 1-line block ×3, first 2 shown]
	v_fma_f64 v[68:69], v[88:89], -0.5, v[12:13]
	v_fma_f64 v[70:71], v[90:91], -0.5, v[14:15]
	s_wait_dscnt 0x1
	v_add_f64_e32 v[28:29], v[16:17], v[20:21]
	v_add_f64_e32 v[30:31], v[18:19], v[22:23]
	s_wait_dscnt 0x0
	v_add_f64_e32 v[96:97], v[20:21], v[24:25]
	v_add_f64_e64 v[32:33], v[22:23], -v[26:27]
	v_add_f64_e32 v[98:99], v[22:23], v[26:27]
	v_add_f64_e64 v[34:35], v[20:21], -v[24:25]
	;; [unrolled: 2-line block ×3, first 2 shown]
	v_mul_lo_u16 v64, v93, 6
	v_add_f64_e32 v[10:11], v[66:67], v[78:79]
	v_add_f64_e64 v[14:15], v[66:67], -v[78:79]
	v_fma_f64 v[66:67], v[42:43], s[14:15], v[62:63]
	v_fma_f64 v[62:63], v[42:43], s[12:13], v[62:63]
	v_and_b32_e32 v64, 0xffff, v64
	s_delay_alu instid0(VALU_DEP_1)
	v_lshlrev_b32_e32 v165, 4, v64
	v_fma_f64 v[64:65], v[40:41], s[12:13], v[60:61]
	v_fma_f64 v[60:61], v[40:41], s[14:15], v[60:61]
	;; [unrolled: 1-line block ×3, first 2 shown]
	v_add_f64_e32 v[84:85], v[28:29], v[24:25]
	v_add_f64_e32 v[86:87], v[30:31], v[26:27]
	ds_load_b128 v[20:23], v92 offset:13824
	ds_load_b128 v[24:27], v92 offset:32256
	;; [unrolled: 1-line block ×3, first 2 shown]
	v_fma_f64 v[90:91], v[98:99], -0.5, v[18:19]
	v_fma_f64 v[88:89], v[96:97], -0.5, v[16:17]
	s_wait_dscnt 0x1
	v_add_f64_e32 v[94:95], v[20:21], v[24:25]
	v_add_f64_e32 v[102:103], v[22:23], v[26:27]
	s_wait_dscnt 0x0
	v_add_f64_e32 v[104:105], v[24:25], v[28:29]
	v_add_f64_e64 v[46:47], v[26:27], -v[30:31]
	v_add_f64_e32 v[106:107], v[26:27], v[30:31]
	v_add_f64_e64 v[44:45], v[24:25], -v[28:29]
	ds_load_b128 v[24:27], v92 offset:6912
	ds_load_b128 v[112:115], v92 offset:25344
	;; [unrolled: 1-line block ×3, first 2 shown]
	v_fma_f64 v[78:79], v[34:35], s[14:15], v[90:91]
	v_fma_f64 v[76:77], v[32:33], s[12:13], v[88:89]
	s_wait_dscnt 0x1
	v_add_f64_e32 v[120:121], v[26:27], v[114:115]
	s_wait_dscnt 0x0
	v_add_f64_e32 v[108:109], v[112:113], v[116:117]
	v_add_f64_e32 v[110:111], v[114:115], v[118:119]
	;; [unrolled: 1-line block ×5, first 2 shown]
	v_add_f64_e64 v[28:29], v[114:115], -v[118:119]
	v_add_f64_e64 v[30:31], v[112:113], -v[116:117]
	v_fma_f64 v[98:99], v[106:107], -0.5, v[22:23]
	v_fma_f64 v[96:97], v[104:105], -0.5, v[20:21]
	v_add_f64_e32 v[112:113], v[120:121], v[118:119]
	v_fma_f64 v[104:105], v[108:109], -0.5, v[24:25]
	v_fma_f64 v[106:107], v[110:111], -0.5, v[26:27]
	v_add_f64_e32 v[16:17], v[84:85], v[100:101]
	v_add_f64_e32 v[94:95], v[94:95], v[116:117]
	ds_load_b128 v[114:117], v92 offset:16128
	ds_load_b128 v[118:121], v92 offset:34560
	;; [unrolled: 1-line block ×3, first 2 shown]
	global_wb scope:SCOPE_SE
	s_wait_dscnt 0x0
	s_barrier_signal -1
	s_barrier_wait -1
	global_inv scope:SCOPE_SE
	ds_store_b128 v165, v[0:3]
	ds_store_b128 v165, v[4:7] offset:48
	v_fma_f64 v[2:3], v[54:55], s[12:13], v[72:73]
	v_fma_f64 v[54:55], v[54:55], s[14:15], v[72:73]
	;; [unrolled: 1-line block ×5, first 2 shown]
	v_add_f64_e64 v[20:21], v[84:85], -v[100:101]
	v_add_f64_e32 v[18:19], v[86:87], v[102:103]
	v_add_f64_e64 v[22:23], v[86:87], -v[102:103]
	v_add_f64_e32 v[126:127], v[114:115], v[118:119]
	v_add_f64_e32 v[132:133], v[120:121], v[124:125]
	;; [unrolled: 1-line block ×3, first 2 shown]
	v_add_f64_e64 v[118:119], v[118:119], -v[122:123]
	v_add_f64_e32 v[128:129], v[116:117], v[120:121]
	v_add_f64_e64 v[120:121], v[120:121], -v[124:125]
	v_fma_f64 v[84:85], v[28:29], s[12:13], v[104:105]
	v_fma_f64 v[86:87], v[30:31], s[14:15], v[106:107]
	v_mul_f64_e32 v[42:43], -0.5, v[54:55]
	v_mul_f64_e32 v[4:5], s[12:13], v[0:1]
	v_add_f64_e32 v[122:123], v[126:127], v[122:123]
	v_fma_f64 v[110:111], v[132:133], -0.5, v[116:117]
	v_fma_f64 v[108:109], v[130:131], -0.5, v[114:115]
	v_and_b32_e32 v126, 0xff, v93
	v_add_f64_e32 v[124:125], v[128:129], v[124:125]
	v_fma_f64 v[52:53], v[40:41], s[12:13], v[42:43]
	v_mul_f64_e32 v[40:41], -0.5, v[40:41]
	v_fma_f64 v[4:5], v[2:3], 0.5, v[4:5]
	v_mul_f64_e32 v[2:3], s[14:15], v[2:3]
	v_add_f64_e32 v[24:25], v[94:95], v[122:123]
	v_add_f64_e64 v[56:57], v[94:95], -v[122:123]
	v_add_co_u32 v122, null, 0x120, v134
	v_add_f64_e32 v[26:27], v[112:113], v[124:125]
	v_add_f64_e64 v[58:59], v[112:113], -v[124:125]
	s_delay_alu instid0(VALU_DEP_3)
	v_and_b32_e32 v124, 0xffff, v122
	v_fma_f64 v[54:55], v[54:55], s[14:15], v[40:41]
	v_add_f64_e32 v[40:41], v[60:61], v[52:53]
	v_add_f64_e64 v[52:53], v[60:61], -v[52:53]
	v_fma_f64 v[60:61], v[48:49], s[14:15], v[70:71]
	v_fma_f64 v[6:7], v[0:1], 0.5, v[2:3]
	v_add_f64_e32 v[0:1], v[64:65], v[4:5]
	v_add_f64_e64 v[4:5], v[64:65], -v[4:5]
	v_add_f64_e32 v[42:43], v[62:63], v[54:55]
	v_add_f64_e64 v[54:55], v[62:63], -v[54:55]
	v_fma_f64 v[62:63], v[50:51], s[12:13], v[68:69]
	v_mul_f64_e32 v[64:65], s[12:13], v[60:61]
	v_fma_f64 v[50:51], v[50:51], s[14:15], v[68:69]
	v_add_f64_e32 v[2:3], v[66:67], v[6:7]
	v_add_f64_e64 v[6:7], v[66:67], -v[6:7]
	v_fma_f64 v[68:69], v[36:37], s[14:15], v[80:81]
	v_fma_f64 v[36:37], v[48:49], s[12:13], v[70:71]
	;; [unrolled: 1-line block ×4, first 2 shown]
	ds_store_b128 v165, v[0:3] offset:16
	ds_store_b128 v165, v[40:43] offset:32
	;; [unrolled: 1-line block ×4, first 2 shown]
	v_fma_f64 v[64:65], v[62:63], 0.5, v[64:65]
	v_mul_f64_e32 v[62:63], s[14:15], v[62:63]
	s_delay_alu instid0(VALU_DEP_1) | instskip(NEXT) | instid1(VALU_DEP_3)
	v_fma_f64 v[66:67], v[60:61], 0.5, v[62:63]
	v_add_f64_e32 v[60:61], v[72:73], v[64:65]
	v_add_f64_e64 v[64:65], v[72:73], -v[64:65]
	v_fma_f64 v[72:73], v[38:39], s[12:13], v[82:83]
	v_mul_f64_e32 v[38:39], -0.5, v[50:51]
	v_add_f64_e32 v[62:63], v[74:75], v[66:67]
	v_add_f64_e64 v[66:67], v[74:75], -v[66:67]
	s_delay_alu instid0(VALU_DEP_3) | instskip(SKIP_1) | instid1(VALU_DEP_1)
	v_fma_f64 v[48:49], v[36:37], s[12:13], v[38:39]
	v_mul_f64_e32 v[36:37], -0.5, v[36:37]
	v_fma_f64 v[50:51], v[50:51], s[14:15], v[36:37]
	s_delay_alu instid0(VALU_DEP_3) | instskip(SKIP_2) | instid1(VALU_DEP_4)
	v_add_f64_e32 v[36:37], v[68:69], v[48:49]
	v_add_f64_e64 v[48:49], v[68:69], -v[48:49]
	v_fma_f64 v[68:69], v[44:45], s[14:15], v[98:99]
	v_add_f64_e32 v[38:39], v[72:73], v[50:51]
	v_add_f64_e64 v[50:51], v[72:73], -v[50:51]
	s_delay_alu instid0(VALU_DEP_3) | instskip(NEXT) | instid1(VALU_DEP_1)
	v_mul_f64_e32 v[72:73], s[12:13], v[68:69]
	v_fma_f64 v[72:73], v[70:71], 0.5, v[72:73]
	v_mul_f64_e32 v[70:71], s[14:15], v[70:71]
	s_delay_alu instid0(VALU_DEP_1) | instskip(NEXT) | instid1(VALU_DEP_3)
	v_fma_f64 v[74:75], v[68:69], 0.5, v[70:71]
	v_add_f64_e32 v[68:69], v[76:77], v[72:73]
	v_add_f64_e64 v[72:73], v[76:77], -v[72:73]
	v_fma_f64 v[76:77], v[32:33], s[14:15], v[88:89]
	v_fma_f64 v[32:33], v[44:45], s[12:13], v[98:99]
	;; [unrolled: 1-line block ×3, first 2 shown]
	v_add_f64_e32 v[70:71], v[78:79], v[74:75]
	v_add_f64_e64 v[74:75], v[78:79], -v[74:75]
	v_fma_f64 v[78:79], v[34:35], s[12:13], v[90:91]
	v_mul_f64_e32 v[34:35], -0.5, v[46:47]
	s_delay_alu instid0(VALU_DEP_1) | instskip(SKIP_1) | instid1(VALU_DEP_1)
	v_fma_f64 v[44:45], v[32:33], s[12:13], v[34:35]
	v_mul_f64_e32 v[32:33], -0.5, v[32:33]
	v_fma_f64 v[46:47], v[46:47], s[14:15], v[32:33]
	s_delay_alu instid0(VALU_DEP_3) | instskip(SKIP_2) | instid1(VALU_DEP_4)
	v_add_f64_e32 v[32:33], v[76:77], v[44:45]
	v_add_f64_e64 v[44:45], v[76:77], -v[44:45]
	v_fma_f64 v[76:77], v[118:119], s[14:15], v[110:111]
	v_add_f64_e32 v[34:35], v[78:79], v[46:47]
	v_add_f64_e64 v[46:47], v[78:79], -v[46:47]
	v_fma_f64 v[78:79], v[120:121], s[12:13], v[108:109]
	s_delay_alu instid0(VALU_DEP_4) | instskip(NEXT) | instid1(VALU_DEP_1)
	v_mul_f64_e32 v[80:81], s[12:13], v[76:77]
	v_fma_f64 v[80:81], v[78:79], 0.5, v[80:81]
	v_mul_f64_e32 v[78:79], s[14:15], v[78:79]
	s_delay_alu instid0(VALU_DEP_1) | instskip(NEXT) | instid1(VALU_DEP_3)
	v_fma_f64 v[82:83], v[76:77], 0.5, v[78:79]
	v_add_f64_e32 v[76:77], v[84:85], v[80:81]
	v_add_f64_e64 v[80:81], v[84:85], -v[80:81]
	v_fma_f64 v[84:85], v[120:121], s[14:15], v[108:109]
	v_add_co_u32 v120, null, 0x90, v134
	v_add_co_u32 v121, null, 0x1b0, v134
	s_delay_alu instid0(VALU_DEP_2) | instskip(SKIP_1) | instid1(VALU_DEP_3)
	v_mul_u32_u24_e32 v0, 6, v120
	v_and_b32_e32 v123, 0xffff, v120
	v_and_b32_e32 v125, 0xffff, v121
	s_delay_alu instid0(VALU_DEP_3)
	v_lshlrev_b32_e32 v166, 4, v0
	v_mul_u32_u24_e32 v0, 6, v122
	ds_store_b128 v166, v[8:11]
	ds_store_b128 v166, v[60:63] offset:16
	ds_store_b128 v166, v[36:39] offset:32
	;; [unrolled: 1-line block ×5, first 2 shown]
	v_lshlrev_b32_e32 v0, 4, v0
	scratch_store_b32 off, v0, off offset:404 ; 4-byte Folded Spill
	ds_store_b128 v0, v[16:19]
	ds_store_b128 v0, v[68:71] offset:16
	ds_store_b128 v0, v[32:35] offset:32
	;; [unrolled: 1-line block ×5, first 2 shown]
	v_mul_u32_u24_e32 v0, 6, v121
	s_delay_alu instid0(VALU_DEP_1)
	v_lshlrev_b32_e32 v0, 4, v0
	scratch_store_b32 off, v0, off offset:400 ; 4-byte Folded Spill
	v_add_f64_e32 v[78:79], v[86:87], v[82:83]
	v_add_f64_e64 v[82:83], v[86:87], -v[82:83]
	v_fma_f64 v[86:87], v[28:29], s[14:15], v[104:105]
	v_fma_f64 v[28:29], v[118:119], s[12:13], v[110:111]
	v_mul_f64_e32 v[30:31], -0.5, v[84:85]
	s_delay_alu instid0(VALU_DEP_1) | instskip(SKIP_1) | instid1(VALU_DEP_1)
	v_fma_f64 v[90:91], v[28:29], s[12:13], v[30:31]
	v_mul_f64_e32 v[28:29], -0.5, v[28:29]
	v_fma_f64 v[94:95], v[84:85], s[14:15], v[28:29]
	s_delay_alu instid0(VALU_DEP_3) | instskip(SKIP_1) | instid1(VALU_DEP_3)
	v_add_f64_e32 v[28:29], v[86:87], v[90:91]
	v_add_f64_e64 v[84:85], v[86:87], -v[90:91]
	v_add_f64_e32 v[30:31], v[88:89], v[94:95]
	v_add_f64_e64 v[86:87], v[88:89], -v[94:95]
	ds_store_b128 v0, v[24:27]
	ds_store_b128 v0, v[76:79] offset:16
	ds_store_b128 v0, v[28:31] offset:32
	;; [unrolled: 1-line block ×5, first 2 shown]
	v_mul_lo_u16 v0, 0xab, v126
	global_wb scope:SCOPE_SE
	s_wait_storecnt_dscnt 0x0
	s_barrier_signal -1
	s_barrier_wait -1
	global_inv scope:SCOPE_SE
	v_lshrrev_b16 v133, 10, v0
	s_delay_alu instid0(VALU_DEP_1) | instskip(SKIP_1) | instid1(VALU_DEP_2)
	v_mul_lo_u16 v0, v133, 6
	v_and_b32_e32 v133, 0xffff, v133
	v_sub_nc_u16 v0, v93, v0
	s_delay_alu instid0(VALU_DEP_2) | instskip(NEXT) | instid1(VALU_DEP_2)
	v_mul_u32_u24_e32 v133, 36, v133
	v_and_b32_e32 v134, 0xff, v0
	ds_load_b128 v[0:3], v92 offset:9216
	v_mad_co_u64_u32 v[4:5], null, 0x50, v134, s[10:11]
	v_add_lshl_u32 v133, v133, v134, 4
	global_load_b128 v[8:11], v[4:5], off
	s_wait_loadcnt_dscnt 0x0
	v_mul_f64_e32 v[6:7], v[2:3], v[10:11]
	scratch_store_b128 off, v[8:11], off offset:408 ; 16-byte Folded Spill
	v_fma_f64 v[24:25], v[0:1], v[8:9], -v[6:7]
	v_mul_f64_e32 v[0:1], v[0:1], v[10:11]
	s_delay_alu instid0(VALU_DEP_1)
	v_fma_f64 v[26:27], v[2:3], v[8:9], v[0:1]
	global_load_b128 v[8:11], v[4:5], off offset:16
	ds_load_b128 v[0:3], v92 offset:18432
	s_wait_loadcnt_dscnt 0x0
	v_mul_f64_e32 v[6:7], v[2:3], v[10:11]
	scratch_store_b128 off, v[8:11], off offset:424 ; 16-byte Folded Spill
	v_fma_f64 v[30:31], v[0:1], v[8:9], -v[6:7]
	v_mul_f64_e32 v[0:1], v[0:1], v[10:11]
	s_delay_alu instid0(VALU_DEP_1)
	v_fma_f64 v[32:33], v[2:3], v[8:9], v[0:1]
	global_load_b128 v[8:11], v[4:5], off offset:32
	ds_load_b128 v[0:3], v92 offset:27648
	s_wait_loadcnt_dscnt 0x0
	v_mul_f64_e32 v[6:7], v[2:3], v[10:11]
	scratch_store_b128 off, v[8:11], off offset:440 ; 16-byte Folded Spill
	v_fma_f64 v[42:43], v[0:1], v[8:9], -v[6:7]
	v_mul_f64_e32 v[0:1], v[0:1], v[10:11]
	s_delay_alu instid0(VALU_DEP_1)
	v_fma_f64 v[38:39], v[2:3], v[8:9], v[0:1]
	global_load_b128 v[8:11], v[4:5], off offset:48
	ds_load_b128 v[0:3], v92 offset:36864
	s_wait_loadcnt_dscnt 0x0
	v_mul_f64_e32 v[6:7], v[2:3], v[10:11]
	scratch_store_b128 off, v[8:11], off offset:456 ; 16-byte Folded Spill
	v_fma_f64 v[46:47], v[0:1], v[8:9], -v[6:7]
	v_mul_f64_e32 v[0:1], v[0:1], v[10:11]
	s_delay_alu instid0(VALU_DEP_1)
	v_fma_f64 v[56:57], v[2:3], v[8:9], v[0:1]
	global_load_b128 v[6:9], v[4:5], off offset:64
	ds_load_b128 v[0:3], v92 offset:46080
	s_wait_loadcnt_dscnt 0x0
	v_mul_f64_e32 v[4:5], v[2:3], v[8:9]
	scratch_store_b128 off, v[6:9], off offset:472 ; 16-byte Folded Spill
	v_fma_f64 v[72:73], v[0:1], v[6:7], -v[4:5]
	v_mul_f64_e32 v[0:1], v[0:1], v[8:9]
	s_delay_alu instid0(VALU_DEP_1) | instskip(SKIP_1) | instid1(VALU_DEP_1)
	v_fma_f64 v[62:63], v[2:3], v[6:7], v[0:1]
	v_mul_u32_u24_e32 v0, 0xaaab, v123
	v_lshrrev_b32_e32 v127, 18, v0
	s_delay_alu instid0(VALU_DEP_1) | instskip(NEXT) | instid1(VALU_DEP_1)
	v_mul_lo_u16 v0, v127, 6
	v_sub_nc_u16 v128, v120, v0
	s_delay_alu instid0(VALU_DEP_1) | instskip(NEXT) | instid1(VALU_DEP_1)
	v_mul_lo_u16 v0, 0x50, v128
	v_and_b32_e32 v0, 0xffff, v0
	s_delay_alu instid0(VALU_DEP_1)
	v_add_co_u32 v4, s16, s10, v0
	s_wait_alu 0xf1ff
	v_add_co_ci_u32_e64 v5, null, s11, 0, s16
	ds_load_b128 v[0:3], v92 offset:11520
	global_load_b128 v[8:11], v[4:5], off
	s_wait_loadcnt_dscnt 0x0
	v_mul_f64_e32 v[6:7], v[2:3], v[10:11]
	scratch_store_b128 off, v[8:11], off offset:488 ; 16-byte Folded Spill
	v_fma_f64 v[28:29], v[0:1], v[8:9], -v[6:7]
	v_mul_f64_e32 v[0:1], v[0:1], v[10:11]
	s_delay_alu instid0(VALU_DEP_1)
	v_fma_f64 v[34:35], v[2:3], v[8:9], v[0:1]
	global_load_b128 v[8:11], v[4:5], off offset:16
	ds_load_b128 v[0:3], v92 offset:20736
	s_wait_loadcnt_dscnt 0x0
	v_mul_f64_e32 v[6:7], v[2:3], v[10:11]
	scratch_store_b128 off, v[8:11], off offset:504 ; 16-byte Folded Spill
	v_fma_f64 v[40:41], v[0:1], v[8:9], -v[6:7]
	v_mul_f64_e32 v[0:1], v[0:1], v[10:11]
	s_delay_alu instid0(VALU_DEP_1)
	v_fma_f64 v[44:45], v[2:3], v[8:9], v[0:1]
	global_load_b128 v[8:11], v[4:5], off offset:32
	ds_load_b128 v[0:3], v92 offset:29952
	s_wait_loadcnt_dscnt 0x0
	v_mul_f64_e32 v[6:7], v[2:3], v[10:11]
	scratch_store_b128 off, v[8:11], off offset:520 ; 16-byte Folded Spill
	v_fma_f64 v[58:59], v[0:1], v[8:9], -v[6:7]
	v_mul_f64_e32 v[0:1], v[0:1], v[10:11]
	s_delay_alu instid0(VALU_DEP_1)
	v_fma_f64 v[52:53], v[2:3], v[8:9], v[0:1]
	global_load_b128 v[8:11], v[4:5], off offset:48
	ds_load_b128 v[0:3], v92 offset:39168
	s_wait_loadcnt_dscnt 0x0
	v_mul_f64_e32 v[6:7], v[2:3], v[10:11]
	scratch_store_b128 off, v[8:11], off offset:536 ; 16-byte Folded Spill
	v_fma_f64 v[64:65], v[0:1], v[8:9], -v[6:7]
	v_mul_f64_e32 v[0:1], v[0:1], v[10:11]
	s_delay_alu instid0(VALU_DEP_1)
	v_fma_f64 v[74:75], v[2:3], v[8:9], v[0:1]
	global_load_b128 v[6:9], v[4:5], off offset:64
	ds_load_b128 v[0:3], v92 offset:48384
	s_wait_loadcnt_dscnt 0x0
	v_mul_f64_e32 v[4:5], v[2:3], v[8:9]
	scratch_store_b128 off, v[6:9], off offset:552 ; 16-byte Folded Spill
	v_fma_f64 v[86:87], v[0:1], v[6:7], -v[4:5]
	v_mul_f64_e32 v[0:1], v[0:1], v[8:9]
	s_delay_alu instid0(VALU_DEP_1) | instskip(SKIP_1) | instid1(VALU_DEP_1)
	v_fma_f64 v[80:81], v[2:3], v[6:7], v[0:1]
	v_mul_u32_u24_e32 v0, 0xaaab, v124
	v_lshrrev_b32_e32 v129, 18, v0
	s_delay_alu instid0(VALU_DEP_1) | instskip(NEXT) | instid1(VALU_DEP_1)
	v_mul_lo_u16 v0, v129, 6
	v_sub_nc_u16 v130, v122, v0
	s_delay_alu instid0(VALU_DEP_1) | instskip(NEXT) | instid1(VALU_DEP_1)
	v_mul_lo_u16 v0, 0x50, v130
	v_and_b32_e32 v0, 0xffff, v0
	s_delay_alu instid0(VALU_DEP_1)
	v_add_co_u32 v4, s16, s10, v0
	s_wait_alu 0xf1ff
	v_add_co_ci_u32_e64 v5, null, s11, 0, s16
	ds_load_b128 v[0:3], v92 offset:13824
	;; [unrolled: 57-line block ×3, first 2 shown]
	global_load_b128 v[8:11], v[4:5], off
	s_wait_loadcnt_dscnt 0x0
	v_mul_f64_e32 v[6:7], v[2:3], v[10:11]
	scratch_store_b128 off, v[8:11], off offset:648 ; 16-byte Folded Spill
	v_fma_f64 v[50:51], v[0:1], v[8:9], -v[6:7]
	v_mul_f64_e32 v[0:1], v[0:1], v[10:11]
	s_delay_alu instid0(VALU_DEP_1)
	v_fma_f64 v[66:67], v[2:3], v[8:9], v[0:1]
	global_load_b128 v[8:11], v[4:5], off offset:16
	ds_load_b128 v[0:3], v92 offset:25344
	s_wait_loadcnt_dscnt 0x0
	v_mul_f64_e32 v[6:7], v[2:3], v[10:11]
	scratch_store_b128 off, v[8:11], off offset:664 ; 16-byte Folded Spill
	v_fma_f64 v[70:71], v[0:1], v[8:9], -v[6:7]
	v_mul_f64_e32 v[0:1], v[0:1], v[10:11]
	s_delay_alu instid0(VALU_DEP_1)
	v_fma_f64 v[78:79], v[2:3], v[8:9], v[0:1]
	global_load_b128 v[8:11], v[4:5], off offset:32
	ds_load_b128 v[0:3], v92 offset:34560
	s_wait_loadcnt_dscnt 0x0
	v_mul_f64_e32 v[6:7], v[2:3], v[10:11]
	scratch_store_b128 off, v[8:11], off offset:680 ; 16-byte Folded Spill
	v_fma_f64 v[90:91], v[0:1], v[8:9], -v[6:7]
	v_mul_f64_e32 v[0:1], v[0:1], v[10:11]
	s_delay_alu instid0(VALU_DEP_1)
	v_fma_f64 v[84:85], v[2:3], v[8:9], v[0:1]
	global_load_b128 v[8:11], v[4:5], off offset:48
	ds_load_b128 v[0:3], v92 offset:43776
	s_wait_loadcnt_dscnt 0x0
	v_mul_f64_e32 v[6:7], v[2:3], v[10:11]
	scratch_store_b128 off, v[8:11], off offset:696 ; 16-byte Folded Spill
	v_fma_f64 v[94:95], v[0:1], v[8:9], -v[6:7]
	v_mul_f64_e32 v[0:1], v[0:1], v[10:11]
	s_delay_alu instid0(VALU_DEP_1)
	v_fma_f64 v[98:99], v[2:3], v[8:9], v[0:1]
	global_load_b128 v[6:9], v[4:5], off offset:64
	ds_load_b128 v[0:3], v92 offset:52992
	v_add_f64_e32 v[139:140], v[78:79], v[98:99]
	s_wait_loadcnt_dscnt 0x0
	v_mul_f64_e32 v[4:5], v[2:3], v[8:9]
	scratch_store_b128 off, v[6:9], off offset:712 ; 16-byte Folded Spill
	v_fma_f64 v[102:103], v[0:1], v[6:7], -v[4:5]
	v_mul_f64_e32 v[0:1], v[0:1], v[8:9]
	v_add_f64_e32 v[4:5], v[30:31], v[46:47]
	v_add_f64_e32 v[8:9], v[54:55], v[82:83]
	s_delay_alu instid0(VALU_DEP_3)
	v_fma_f64 v[100:101], v[2:3], v[6:7], v[0:1]
	ds_load_b128 v[0:3], v92
	v_add_f64_e32 v[6:7], v[26:27], v[38:39]
	s_wait_dscnt 0x0
	v_fma_f64 v[112:113], v[4:5], -0.5, v[0:1]
	v_add_f64_e32 v[4:5], v[32:33], v[56:57]
	v_add_f64_e32 v[0:1], v[0:1], v[30:31]
	v_add_f64_e64 v[30:31], v[30:31], -v[46:47]
	v_add_f64_e32 v[6:7], v[6:7], v[62:63]
	s_delay_alu instid0(VALU_DEP_4) | instskip(SKIP_4) | instid1(VALU_DEP_4)
	v_fma_f64 v[114:115], v[4:5], -0.5, v[2:3]
	v_add_f64_e32 v[4:5], v[24:25], v[42:43]
	v_add_f64_e32 v[2:3], v[2:3], v[32:33]
	;; [unrolled: 1-line block ×3, first 2 shown]
	v_add_f64_e64 v[32:33], v[32:33], -v[56:57]
	v_add_f64_e32 v[4:5], v[4:5], v[72:73]
	s_delay_alu instid0(VALU_DEP_4) | instskip(SKIP_1) | instid1(VALU_DEP_4)
	v_add_f64_e32 v[2:3], v[2:3], v[56:57]
	v_fma_f64 v[56:57], v[30:31], s[14:15], v[114:115]
	v_fma_f64 v[46:47], v[32:33], s[12:13], v[112:113]
	;; [unrolled: 1-line block ×3, first 2 shown]
	v_add_f64_e32 v[20:21], v[0:1], v[4:5]
	v_add_f64_e64 v[16:17], v[0:1], -v[4:5]
	v_add_f64_e32 v[4:5], v[40:41], v[64:65]
	v_add_f64_e32 v[22:23], v[2:3], v[6:7]
	v_add_f64_e64 v[18:19], v[2:3], -v[6:7]
	ds_load_b128 v[0:3], v92 offset:2304
	v_add_f64_e32 v[6:7], v[34:35], v[52:53]
	s_wait_dscnt 0x0
	v_fma_f64 v[108:109], v[4:5], -0.5, v[0:1]
	v_add_f64_e32 v[4:5], v[44:45], v[74:75]
	v_add_f64_e32 v[0:1], v[0:1], v[40:41]
	s_delay_alu instid0(VALU_DEP_4) | instskip(NEXT) | instid1(VALU_DEP_3)
	v_add_f64_e32 v[6:7], v[6:7], v[80:81]
	v_fma_f64 v[110:111], v[4:5], -0.5, v[2:3]
	v_add_f64_e32 v[2:3], v[2:3], v[44:45]
	v_add_f64_e32 v[4:5], v[28:29], v[58:59]
	;; [unrolled: 1-line block ×3, first 2 shown]
	s_delay_alu instid0(VALU_DEP_3) | instskip(NEXT) | instid1(VALU_DEP_3)
	v_add_f64_e32 v[2:3], v[2:3], v[74:75]
	v_add_f64_e32 v[4:5], v[4:5], v[86:87]
	s_delay_alu instid0(VALU_DEP_2) | instskip(NEXT) | instid1(VALU_DEP_2)
	v_add_f64_e32 v[14:15], v[2:3], v[6:7]
	v_add_f64_e32 v[12:13], v[0:1], v[4:5]
	v_add_f64_e64 v[0:1], v[0:1], -v[4:5]
	v_add_f64_e64 v[2:3], v[2:3], -v[6:7]
	ds_load_b128 v[4:7], v92 offset:4608
	s_wait_dscnt 0x0
	v_fma_f64 v[104:105], v[8:9], -0.5, v[4:5]
	v_add_f64_e32 v[8:9], v[60:61], v[88:89]
	v_add_f64_e32 v[4:5], v[4:5], v[54:55]
	v_add_f64_e64 v[54:55], v[54:55], -v[82:83]
	s_delay_alu instid0(VALU_DEP_3)
	v_fma_f64 v[106:107], v[8:9], -0.5, v[6:7]
	v_add_f64_e32 v[8:9], v[36:37], v[76:77]
	v_add_f64_e32 v[6:7], v[6:7], v[60:61]
	;; [unrolled: 1-line block ×3, first 2 shown]
	v_add_f64_e64 v[60:61], v[60:61], -v[88:89]
	v_add_f64_e64 v[82:83], v[78:79], -v[98:99]
	v_add_f64_e32 v[116:117], v[8:9], v[96:97]
	v_add_f64_e32 v[8:9], v[48:49], v[68:69]
	;; [unrolled: 1-line block ×3, first 2 shown]
	s_delay_alu instid0(VALU_DEP_2) | instskip(NEXT) | instid1(VALU_DEP_4)
	v_add_f64_e32 v[135:136], v[8:9], v[118:119]
	v_add_f64_e32 v[8:9], v[4:5], v[116:117]
	v_add_f64_e64 v[4:5], v[4:5], -v[116:117]
	v_add_f64_e32 v[116:117], v[70:71], v[94:95]
	s_delay_alu instid0(VALU_DEP_4)
	v_add_f64_e32 v[10:11], v[6:7], v[135:136]
	v_add_f64_e64 v[6:7], v[6:7], -v[135:136]
	ds_load_b128 v[135:138], v92 offset:6912
	global_wb scope:SCOPE_SE
	s_wait_storecnt_dscnt 0x0
	s_barrier_signal -1
	s_barrier_wait -1
	global_inv scope:SCOPE_SE
	ds_store_b128 v133, v[20:23]
	ds_store_b128 v133, v[16:19] offset:288
	v_add_f64_e32 v[16:17], v[42:43], v[72:73]
	v_add_f64_e32 v[18:19], v[38:39], v[62:63]
	v_add_f64_e64 v[38:39], v[38:39], -v[62:63]
	v_add_f64_e64 v[42:43], v[42:43], -v[72:73]
	v_fma_f64 v[116:117], v[116:117], -0.5, v[135:136]
	v_add_f64_e32 v[135:136], v[135:136], v[70:71]
	v_fma_f64 v[143:144], v[139:140], -0.5, v[137:138]
	v_add_f64_e64 v[70:71], v[70:71], -v[94:95]
	v_add_f64_e32 v[137:138], v[137:138], v[78:79]
	v_fma_f64 v[24:25], v[16:17], -0.5, v[24:25]
	v_fma_f64 v[26:27], v[18:19], -0.5, v[26:27]
	v_fma_f64 v[78:79], v[82:83], s[12:13], v[116:117]
	v_add_f64_e32 v[139:140], v[135:136], v[94:95]
	v_add_f64_e32 v[135:136], v[50:51], v[90:91]
	;; [unrolled: 1-line block ×3, first 2 shown]
	v_fma_f64 v[18:19], v[38:39], s[12:13], v[24:25]
	v_fma_f64 v[24:25], v[38:39], s[14:15], v[24:25]
	v_fma_f64 v[16:17], v[42:43], s[14:15], v[26:27]
	v_fma_f64 v[38:39], v[30:31], s[12:13], v[114:115]
	v_fma_f64 v[26:27], v[42:43], s[12:13], v[26:27]
	v_add_f64_e32 v[145:146], v[135:136], v[102:103]
	v_add_f64_e32 v[135:136], v[66:67], v[84:85]
	v_mul_f64_e32 v[30:31], -0.5, v[24:25]
	v_mul_f64_e32 v[20:21], s[12:13], v[16:17]
	s_delay_alu instid0(VALU_DEP_3)
	v_add_f64_e32 v[147:148], v[135:136], v[100:101]
	v_add_f64_e32 v[135:136], v[139:140], v[145:146]
	v_add_f64_e64 v[139:140], v[139:140], -v[145:146]
	v_fma_f64 v[30:31], v[26:27], s[12:13], v[30:31]
	v_mul_f64_e32 v[26:27], -0.5, v[26:27]
	v_fma_f64 v[20:21], v[18:19], 0.5, v[20:21]
	v_mul_f64_e32 v[18:19], s[14:15], v[18:19]
	v_add_f64_e32 v[137:138], v[141:142], v[147:148]
	v_add_f64_e64 v[141:142], v[141:142], -v[147:148]
	v_fma_f64 v[42:43], v[24:25], s[14:15], v[26:27]
	v_add_f64_e32 v[24:25], v[32:33], v[30:31]
	v_add_f64_e64 v[30:31], v[32:33], -v[30:31]
	v_fma_f64 v[22:23], v[16:17], 0.5, v[18:19]
	v_add_f64_e32 v[16:17], v[46:47], v[20:21]
	v_add_f64_e64 v[20:21], v[46:47], -v[20:21]
	v_add_f64_e64 v[46:47], v[58:59], -v[86:87]
	v_add_f64_e32 v[26:27], v[38:39], v[42:43]
	v_add_f64_e64 v[32:33], v[38:39], -v[42:43]
	v_add_f64_e32 v[42:43], v[52:53], v[80:81]
	v_add_f64_e32 v[38:39], v[58:59], v[86:87]
	v_add_f64_e64 v[52:53], v[52:53], -v[80:81]
	v_add_f64_e64 v[58:59], v[40:41], -v[64:65]
	v_add_f64_e32 v[18:19], v[56:57], v[22:23]
	v_add_f64_e64 v[22:23], v[56:57], -v[22:23]
	v_add_f64_e64 v[56:57], v[44:45], -v[74:75]
	v_fma_f64 v[74:75], v[60:61], s[12:13], v[104:105]
	v_fma_f64 v[60:61], v[60:61], s[14:15], v[104:105]
	;; [unrolled: 1-line block ×4, first 2 shown]
	ds_store_b128 v133, v[16:19] offset:96
	ds_store_b128 v133, v[24:27] offset:192
	v_fma_f64 v[34:35], v[42:43], -0.5, v[34:35]
	v_fma_f64 v[28:29], v[38:39], -0.5, v[28:29]
	v_fma_f64 v[64:65], v[58:59], s[14:15], v[110:111]
	v_fma_f64 v[62:63], v[56:57], s[12:13], v[108:109]
	v_mad_u16 v16, v127, 36, v128
	scratch_store_b32 off, v133, off offset:756 ; 4-byte Folded Spill
	ds_store_b128 v133, v[20:23] offset:384
	ds_store_b128 v133, v[30:33] offset:480
	v_and_b32_e32 v16, 0xffff, v16
	s_delay_alu instid0(VALU_DEP_1)
	v_lshlrev_b32_e32 v16, 4, v16
	scratch_store_b32 off, v16, off offset:736 ; 4-byte Folded Spill
	v_fma_f64 v[38:39], v[46:47], s[14:15], v[34:35]
	v_fma_f64 v[40:41], v[52:53], s[12:13], v[28:29]
	;; [unrolled: 1-line block ×5, first 2 shown]
	v_mul_f64_e32 v[42:43], s[12:13], v[38:39]
	s_delay_alu instid0(VALU_DEP_4) | instskip(NEXT) | instid1(VALU_DEP_2)
	v_mul_f64_e32 v[46:47], -0.5, v[28:29]
	v_fma_f64 v[42:43], v[40:41], 0.5, v[42:43]
	v_mul_f64_e32 v[40:41], s[14:15], v[40:41]
	s_delay_alu instid0(VALU_DEP_3) | instskip(SKIP_1) | instid1(VALU_DEP_3)
	v_fma_f64 v[46:47], v[34:35], s[12:13], v[46:47]
	v_mul_f64_e32 v[34:35], -0.5, v[34:35]
	v_fma_f64 v[44:45], v[38:39], 0.5, v[40:41]
	v_add_f64_e32 v[38:39], v[62:63], v[42:43]
	s_delay_alu instid0(VALU_DEP_3)
	v_fma_f64 v[28:29], v[28:29], s[14:15], v[34:35]
	v_add_f64_e32 v[34:35], v[68:69], v[118:119]
	v_add_f64_e64 v[68:69], v[68:69], -v[118:119]
	v_add_f64_e64 v[42:43], v[62:63], -v[42:43]
	v_add_f64_e32 v[56:57], v[52:53], v[46:47]
	v_add_f64_e64 v[62:63], v[52:53], -v[46:47]
	v_add_f64_e64 v[52:53], v[76:77], -v[96:97]
	v_add_f64_e32 v[40:41], v[64:65], v[44:45]
	v_add_f64_e64 v[44:45], v[64:65], -v[44:45]
	v_fma_f64 v[64:65], v[58:59], s[12:13], v[110:111]
	v_fma_f64 v[72:73], v[34:35], -0.5, v[48:49]
	s_delay_alu instid0(VALU_DEP_2) | instskip(SKIP_2) | instid1(VALU_DEP_4)
	v_add_f64_e32 v[58:59], v[64:65], v[28:29]
	v_add_f64_e64 v[64:65], v[64:65], -v[28:29]
	v_add_f64_e32 v[28:29], v[76:77], v[96:97]
	v_fma_f64 v[34:35], v[52:53], s[14:15], v[72:73]
	v_fma_f64 v[76:77], v[54:55], s[14:15], v[106:107]
	;; [unrolled: 1-line block ×3, first 2 shown]
	ds_store_b128 v16, v[12:15]
	ds_store_b128 v16, v[38:41] offset:96
	ds_store_b128 v16, v[56:59] offset:192
	;; [unrolled: 1-line block ×5, first 2 shown]
	v_mad_u16 v0, v129, 36, v130
	v_fma_f64 v[28:29], v[28:29], -0.5, v[36:37]
	v_mul_f64_e32 v[46:47], s[12:13], v[34:35]
	s_delay_alu instid0(VALU_DEP_3) | instskip(NEXT) | instid1(VALU_DEP_1)
	v_and_b32_e32 v0, 0xffff, v0
	v_lshlrev_b32_e32 v0, 4, v0
	scratch_store_b32 off, v0, off offset:732 ; 4-byte Folded Spill
	v_fma_f64 v[36:37], v[68:69], s[12:13], v[28:29]
	v_fma_f64 v[28:29], v[68:69], s[14:15], v[28:29]
	;; [unrolled: 1-line block ×3, first 2 shown]
	s_delay_alu instid0(VALU_DEP_3) | instskip(NEXT) | instid1(VALU_DEP_3)
	v_fma_f64 v[46:47], v[36:37], 0.5, v[46:47]
	v_mul_f64_e32 v[54:55], -0.5, v[28:29]
	v_mul_f64_e32 v[36:37], s[14:15], v[36:37]
	s_delay_alu instid0(VALU_DEP_2) | instskip(SKIP_1) | instid1(VALU_DEP_3)
	v_fma_f64 v[72:73], v[52:53], s[12:13], v[54:55]
	v_mul_f64_e32 v[52:53], -0.5, v[52:53]
	v_fma_f64 v[48:49], v[34:35], 0.5, v[36:37]
	v_add_f64_e32 v[34:35], v[74:75], v[46:47]
	v_add_f64_e64 v[46:47], v[74:75], -v[46:47]
	s_delay_alu instid0(VALU_DEP_4)
	v_fma_f64 v[28:29], v[28:29], s[14:15], v[52:53]
	v_add_f64_e32 v[52:53], v[60:61], v[72:73]
	v_add_f64_e64 v[72:73], v[60:61], -v[72:73]
	v_add_f64_e64 v[60:61], v[90:91], -v[102:103]
	v_add_f64_e32 v[36:37], v[76:77], v[48:49]
	v_add_f64_e64 v[48:49], v[76:77], -v[48:49]
	v_add_f64_e32 v[54:55], v[68:69], v[28:29]
	;; [unrolled: 2-line block ×3, first 2 shown]
	v_add_f64_e32 v[28:29], v[90:91], v[102:103]
	v_add_f64_e64 v[84:85], v[84:85], -v[100:101]
	ds_store_b128 v0, v[8:11]
	ds_store_b128 v0, v[34:37] offset:96
	ds_store_b128 v0, v[52:55] offset:192
	;; [unrolled: 1-line block ×5, first 2 shown]
	v_mad_u16 v0, v131, 36, v132
	v_fma_f64 v[80:81], v[68:69], -0.5, v[66:67]
	v_fma_f64 v[28:29], v[28:29], -0.5, v[50:51]
	s_delay_alu instid0(VALU_DEP_3) | instskip(NEXT) | instid1(VALU_DEP_1)
	v_and_b32_e32 v0, 0xffff, v0
	v_lshlrev_b32_e32 v0, 4, v0
	scratch_store_b32 off, v0, off offset:728 ; 4-byte Folded Spill
	v_fma_f64 v[50:51], v[60:61], s[14:15], v[80:81]
	v_fma_f64 v[66:67], v[84:85], s[12:13], v[28:29]
	;; [unrolled: 1-line block ×4, first 2 shown]
	s_delay_alu instid0(VALU_DEP_4) | instskip(NEXT) | instid1(VALU_DEP_3)
	v_mul_f64_e32 v[68:69], s[12:13], v[50:51]
	v_mul_f64_e32 v[80:81], -0.5, v[28:29]
	s_delay_alu instid0(VALU_DEP_2) | instskip(SKIP_1) | instid1(VALU_DEP_3)
	v_fma_f64 v[76:77], v[66:67], 0.5, v[68:69]
	v_mul_f64_e32 v[66:67], s[14:15], v[66:67]
	v_fma_f64 v[84:85], v[60:61], s[12:13], v[80:81]
	v_mul_f64_e32 v[60:61], -0.5, v[60:61]
	s_delay_alu instid0(VALU_DEP_3) | instskip(SKIP_2) | instid1(VALU_DEP_4)
	v_fma_f64 v[50:51], v[50:51], 0.5, v[66:67]
	v_add_f64_e32 v[66:67], v[78:79], v[76:77]
	v_add_f64_e64 v[76:77], v[78:79], -v[76:77]
	v_fma_f64 v[28:29], v[28:29], s[14:15], v[60:61]
	s_delay_alu instid0(VALU_DEP_4) | instskip(SKIP_2) | instid1(VALU_DEP_4)
	v_add_f64_e32 v[68:69], v[86:87], v[50:51]
	v_add_f64_e64 v[78:79], v[86:87], -v[50:51]
	v_fma_f64 v[50:51], v[82:83], s[14:15], v[116:117]
	v_add_f64_e32 v[82:83], v[70:71], v[28:29]
	v_add_f64_e64 v[86:87], v[70:71], -v[28:29]
	s_delay_alu instid0(VALU_DEP_3)
	v_add_f64_e32 v[80:81], v[50:51], v[84:85]
	v_add_f64_e64 v[84:85], v[50:51], -v[84:85]
	ds_store_b128 v0, v[135:138]
	ds_store_b128 v0, v[66:69] offset:96
	ds_store_b128 v0, v[80:83] offset:192
	;; [unrolled: 1-line block ×5, first 2 shown]
	v_mul_lo_u16 v0, v126, 57
	global_wb scope:SCOPE_SE
	s_wait_storecnt_dscnt 0x0
	s_barrier_signal -1
	s_barrier_wait -1
	global_inv scope:SCOPE_SE
	v_lshrrev_b16 v128, 11, v0
	s_delay_alu instid0(VALU_DEP_1) | instskip(SKIP_1) | instid1(VALU_DEP_2)
	v_mul_lo_u16 v0, v128, 36
	v_and_b32_e32 v128, 0xffff, v128
	v_sub_nc_u16 v0, v93, v0
	s_delay_alu instid0(VALU_DEP_2) | instskip(NEXT) | instid1(VALU_DEP_2)
	v_mul_u32_u24_e32 v128, 0xd8, v128
	v_and_b32_e32 v129, 0xff, v0
	ds_load_b128 v[0:3], v92 offset:9216
	v_mad_co_u64_u32 v[4:5], null, 0x50, v129, s[10:11]
	v_add_lshl_u32 v128, v128, v129, 4
	global_load_b128 v[8:11], v[4:5], off offset:480
	s_wait_loadcnt_dscnt 0x0
	v_mul_f64_e32 v[6:7], v[2:3], v[10:11]
	scratch_store_b128 off, v[8:11], off offset:740 ; 16-byte Folded Spill
	v_fma_f64 v[24:25], v[0:1], v[8:9], -v[6:7]
	v_mul_f64_e32 v[0:1], v[0:1], v[10:11]
	s_delay_alu instid0(VALU_DEP_1)
	v_fma_f64 v[26:27], v[2:3], v[8:9], v[0:1]
	global_load_b128 v[8:11], v[4:5], off offset:496
	ds_load_b128 v[0:3], v92 offset:18432
	s_wait_loadcnt_dscnt 0x0
	v_mul_f64_e32 v[6:7], v[2:3], v[10:11]
	scratch_store_b128 off, v[8:11], off offset:760 ; 16-byte Folded Spill
	v_fma_f64 v[30:31], v[0:1], v[8:9], -v[6:7]
	v_mul_f64_e32 v[0:1], v[0:1], v[10:11]
	s_delay_alu instid0(VALU_DEP_1)
	v_fma_f64 v[32:33], v[2:3], v[8:9], v[0:1]
	global_load_b128 v[8:11], v[4:5], off offset:512
	ds_load_b128 v[0:3], v92 offset:27648
	s_wait_loadcnt_dscnt 0x0
	v_mul_f64_e32 v[6:7], v[2:3], v[10:11]
	scratch_store_b128 off, v[8:11], off offset:776 ; 16-byte Folded Spill
	v_fma_f64 v[44:45], v[0:1], v[8:9], -v[6:7]
	v_mul_f64_e32 v[0:1], v[0:1], v[10:11]
	s_delay_alu instid0(VALU_DEP_1)
	v_fma_f64 v[40:41], v[2:3], v[8:9], v[0:1]
	global_load_b128 v[8:11], v[4:5], off offset:528
	ds_load_b128 v[0:3], v92 offset:36864
	s_wait_loadcnt_dscnt 0x0
	v_mul_f64_e32 v[6:7], v[2:3], v[10:11]
	scratch_store_b128 off, v[8:11], off offset:792 ; 16-byte Folded Spill
	v_fma_f64 v[50:51], v[0:1], v[8:9], -v[6:7]
	v_mul_f64_e32 v[0:1], v[0:1], v[10:11]
	s_delay_alu instid0(VALU_DEP_1)
	v_fma_f64 v[56:57], v[2:3], v[8:9], v[0:1]
	global_load_b128 v[6:9], v[4:5], off offset:544
	ds_load_b128 v[0:3], v92 offset:46080
	s_wait_loadcnt_dscnt 0x0
	v_mul_f64_e32 v[4:5], v[2:3], v[8:9]
	scratch_store_b128 off, v[6:9], off offset:808 ; 16-byte Folded Spill
	v_fma_f64 v[76:77], v[0:1], v[6:7], -v[4:5]
	v_mul_f64_e32 v[0:1], v[0:1], v[8:9]
	s_delay_alu instid0(VALU_DEP_1) | instskip(SKIP_1) | instid1(VALU_DEP_1)
	v_fma_f64 v[68:69], v[2:3], v[6:7], v[0:1]
	v_mul_u32_u24_e32 v0, 0xe38f, v123
	v_lshrrev_b32_e32 v123, 21, v0
	s_delay_alu instid0(VALU_DEP_1) | instskip(NEXT) | instid1(VALU_DEP_1)
	v_mul_lo_u16 v0, v123, 36
	v_sub_nc_u16 v126, v120, v0
	s_delay_alu instid0(VALU_DEP_1) | instskip(NEXT) | instid1(VALU_DEP_1)
	v_mul_lo_u16 v0, 0x50, v126
	v_and_b32_e32 v0, 0xffff, v0
	s_delay_alu instid0(VALU_DEP_1)
	v_add_co_u32 v4, s16, s10, v0
	s_wait_alu 0xf1ff
	v_add_co_ci_u32_e64 v5, null, s11, 0, s16
	ds_load_b128 v[0:3], v92 offset:11520
	global_load_b128 v[8:11], v[4:5], off offset:480
	s_wait_loadcnt_dscnt 0x0
	v_mul_f64_e32 v[6:7], v[2:3], v[10:11]
	scratch_store_b128 off, v[8:11], off offset:824 ; 16-byte Folded Spill
	v_fma_f64 v[28:29], v[0:1], v[8:9], -v[6:7]
	v_mul_f64_e32 v[0:1], v[0:1], v[10:11]
	s_delay_alu instid0(VALU_DEP_1)
	v_fma_f64 v[34:35], v[2:3], v[8:9], v[0:1]
	global_load_b128 v[8:11], v[4:5], off offset:496
	ds_load_b128 v[0:3], v92 offset:20736
	s_wait_loadcnt_dscnt 0x0
	v_mul_f64_e32 v[6:7], v[2:3], v[10:11]
	scratch_store_b128 off, v[8:11], off offset:840 ; 16-byte Folded Spill
	v_fma_f64 v[38:39], v[0:1], v[8:9], -v[6:7]
	v_mul_f64_e32 v[0:1], v[0:1], v[10:11]
	s_delay_alu instid0(VALU_DEP_1)
	v_fma_f64 v[42:43], v[2:3], v[8:9], v[0:1]
	global_load_b128 v[8:11], v[4:5], off offset:512
	ds_load_b128 v[0:3], v92 offset:29952
	s_wait_loadcnt_dscnt 0x0
	v_mul_f64_e32 v[6:7], v[2:3], v[10:11]
	scratch_store_b128 off, v[8:11], off offset:856 ; 16-byte Folded Spill
	v_fma_f64 v[60:61], v[0:1], v[8:9], -v[6:7]
	v_mul_f64_e32 v[0:1], v[0:1], v[10:11]
	s_delay_alu instid0(VALU_DEP_1)
	v_fma_f64 v[54:55], v[2:3], v[8:9], v[0:1]
	global_load_b128 v[8:11], v[4:5], off offset:528
	ds_load_b128 v[0:3], v92 offset:39168
	s_wait_loadcnt_dscnt 0x0
	v_mul_f64_e32 v[6:7], v[2:3], v[10:11]
	scratch_store_b128 off, v[8:11], off offset:872 ; 16-byte Folded Spill
	v_fma_f64 v[64:65], v[0:1], v[8:9], -v[6:7]
	v_mul_f64_e32 v[0:1], v[0:1], v[10:11]
	s_delay_alu instid0(VALU_DEP_1)
	v_fma_f64 v[72:73], v[2:3], v[8:9], v[0:1]
	global_load_b128 v[6:9], v[4:5], off offset:544
	ds_load_b128 v[0:3], v92 offset:48384
	s_wait_loadcnt_dscnt 0x0
	v_mul_f64_e32 v[4:5], v[2:3], v[8:9]
	scratch_store_b128 off, v[6:9], off offset:888 ; 16-byte Folded Spill
	v_fma_f64 v[88:89], v[0:1], v[6:7], -v[4:5]
	v_mul_f64_e32 v[0:1], v[0:1], v[8:9]
	s_delay_alu instid0(VALU_DEP_1) | instskip(SKIP_1) | instid1(VALU_DEP_1)
	v_fma_f64 v[82:83], v[2:3], v[6:7], v[0:1]
	v_mul_u32_u24_e32 v0, 0xe38f, v124
	v_lshrrev_b32_e32 v124, 21, v0
	s_delay_alu instid0(VALU_DEP_1) | instskip(NEXT) | instid1(VALU_DEP_1)
	v_mul_lo_u16 v0, v124, 36
	v_sub_nc_u16 v122, v122, v0
	s_delay_alu instid0(VALU_DEP_1) | instskip(NEXT) | instid1(VALU_DEP_1)
	v_mul_lo_u16 v0, 0x50, v122
	v_and_b32_e32 v0, 0xffff, v0
	s_delay_alu instid0(VALU_DEP_1)
	v_add_co_u32 v4, s16, s10, v0
	s_wait_alu 0xf1ff
	v_add_co_ci_u32_e64 v5, null, s11, 0, s16
	ds_load_b128 v[0:3], v92 offset:13824
	;; [unrolled: 57-line block ×3, first 2 shown]
	s_clause 0x1
	global_load_b128 v[252:255], v[4:5], off offset:544
	global_load_b128 v[8:11], v[4:5], off offset:480
	s_wait_loadcnt_dscnt 0x0
	v_mul_f64_e32 v[6:7], v[2:3], v[10:11]
	scratch_store_b128 off, v[8:11], off offset:984 ; 16-byte Folded Spill
	v_fma_f64 v[48:49], v[0:1], v[8:9], -v[6:7]
	v_mul_f64_e32 v[0:1], v[0:1], v[10:11]
	s_delay_alu instid0(VALU_DEP_1)
	v_fma_f64 v[62:63], v[2:3], v[8:9], v[0:1]
	global_load_b128 v[8:11], v[4:5], off offset:496
	ds_load_b128 v[0:3], v92 offset:25344
	s_wait_loadcnt_dscnt 0x0
	v_mul_f64_e32 v[6:7], v[2:3], v[10:11]
	scratch_store_b128 off, v[8:11], off offset:1000 ; 16-byte Folded Spill
	v_fma_f64 v[66:67], v[0:1], v[8:9], -v[6:7]
	v_mul_f64_e32 v[0:1], v[0:1], v[10:11]
	s_delay_alu instid0(VALU_DEP_1)
	v_fma_f64 v[74:75], v[2:3], v[8:9], v[0:1]
	global_load_b128 v[8:11], v[4:5], off offset:512
	ds_load_b128 v[0:3], v92 offset:34560
	;; [unrolled: 9-line block ×3, first 2 shown]
	s_wait_loadcnt_dscnt 0x0
	v_mul_f64_e32 v[6:7], v[2:3], v[10:11]
	scratch_store_b128 off, v[8:11], off offset:1032 ; 16-byte Folded Spill
	v_fma_f64 v[118:119], v[0:1], v[8:9], -v[6:7]
	v_mul_f64_e32 v[0:1], v[0:1], v[10:11]
	v_add_f64_e32 v[6:7], v[26:27], v[40:41]
	s_delay_alu instid0(VALU_DEP_2)
	v_fma_f64 v[96:97], v[2:3], v[8:9], v[0:1]
	ds_load_b128 v[0:3], v92 offset:52992
	v_add_f64_e32 v[6:7], v[6:7], v[68:69]
	s_wait_dscnt 0x0
	v_mul_f64_e32 v[4:5], v[2:3], v[254:255]
	v_add_f64_e32 v[134:135], v[74:75], v[96:97]
	s_delay_alu instid0(VALU_DEP_2) | instskip(SKIP_2) | instid1(VALU_DEP_2)
	v_fma_f64 v[102:103], v[0:1], v[252:253], -v[4:5]
	v_mul_f64_e32 v[0:1], v[0:1], v[254:255]
	v_add_f64_e32 v[4:5], v[30:31], v[50:51]
	v_fma_f64 v[100:101], v[2:3], v[252:253], v[0:1]
	ds_load_b128 v[0:3], v92
	s_wait_dscnt 0x0
	v_fma_f64 v[112:113], v[4:5], -0.5, v[0:1]
	v_add_f64_e32 v[4:5], v[32:33], v[56:57]
	v_add_f64_e32 v[0:1], v[0:1], v[30:31]
	v_add_f64_e64 v[30:31], v[30:31], -v[50:51]
	s_delay_alu instid0(VALU_DEP_3) | instskip(SKIP_4) | instid1(VALU_DEP_4)
	v_fma_f64 v[114:115], v[4:5], -0.5, v[2:3]
	v_add_f64_e32 v[4:5], v[24:25], v[44:45]
	v_add_f64_e32 v[2:3], v[2:3], v[32:33]
	;; [unrolled: 1-line block ×3, first 2 shown]
	v_add_f64_e64 v[32:33], v[32:33], -v[56:57]
	v_add_f64_e32 v[4:5], v[4:5], v[76:77]
	s_delay_alu instid0(VALU_DEP_4) | instskip(SKIP_1) | instid1(VALU_DEP_4)
	v_add_f64_e32 v[2:3], v[2:3], v[56:57]
	v_fma_f64 v[56:57], v[30:31], s[14:15], v[114:115]
	v_fma_f64 v[50:51], v[32:33], s[12:13], v[112:113]
	;; [unrolled: 1-line block ×3, first 2 shown]
	v_add_f64_e32 v[20:21], v[0:1], v[4:5]
	v_add_f64_e64 v[16:17], v[0:1], -v[4:5]
	v_add_f64_e32 v[4:5], v[38:39], v[64:65]
	v_add_f64_e32 v[22:23], v[2:3], v[6:7]
	v_add_f64_e64 v[18:19], v[2:3], -v[6:7]
	ds_load_b128 v[0:3], v92 offset:2304
	v_add_f64_e32 v[6:7], v[34:35], v[54:55]
	s_wait_dscnt 0x0
	v_fma_f64 v[108:109], v[4:5], -0.5, v[0:1]
	v_add_f64_e32 v[4:5], v[42:43], v[72:73]
	v_add_f64_e32 v[0:1], v[0:1], v[38:39]
	s_delay_alu instid0(VALU_DEP_4) | instskip(NEXT) | instid1(VALU_DEP_3)
	v_add_f64_e32 v[6:7], v[6:7], v[82:83]
	v_fma_f64 v[110:111], v[4:5], -0.5, v[2:3]
	v_add_f64_e32 v[4:5], v[28:29], v[60:61]
	v_add_f64_e32 v[2:3], v[2:3], v[42:43]
	;; [unrolled: 1-line block ×3, first 2 shown]
	s_delay_alu instid0(VALU_DEP_3) | instskip(NEXT) | instid1(VALU_DEP_3)
	v_add_f64_e32 v[4:5], v[4:5], v[88:89]
	v_add_f64_e32 v[2:3], v[2:3], v[72:73]
	s_delay_alu instid0(VALU_DEP_2) | instskip(SKIP_2) | instid1(VALU_DEP_4)
	v_add_f64_e32 v[12:13], v[0:1], v[4:5]
	v_add_f64_e64 v[8:9], v[0:1], -v[4:5]
	v_add_f64_e32 v[4:5], v[52:53], v[80:81]
	v_add_f64_e32 v[14:15], v[2:3], v[6:7]
	v_add_f64_e64 v[10:11], v[2:3], -v[6:7]
	ds_load_b128 v[0:3], v92 offset:4608
	s_wait_dscnt 0x0
	v_fma_f64 v[104:105], v[4:5], -0.5, v[0:1]
	v_add_f64_e32 v[4:5], v[58:59], v[86:87]
	v_add_f64_e32 v[0:1], v[0:1], v[52:53]
	s_delay_alu instid0(VALU_DEP_2) | instskip(SKIP_4) | instid1(VALU_DEP_4)
	v_fma_f64 v[106:107], v[4:5], -0.5, v[2:3]
	v_add_f64_e32 v[4:5], v[36:37], v[78:79]
	v_add_f64_e32 v[2:3], v[2:3], v[58:59]
	v_add_f64_e64 v[58:59], v[58:59], -v[86:87]
	v_add_f64_e32 v[0:1], v[0:1], v[80:81]
	v_add_f64_e32 v[116:117], v[4:5], v[98:99]
	;; [unrolled: 1-line block ×4, first 2 shown]
	s_delay_alu instid0(VALU_DEP_2) | instskip(NEXT) | instid1(VALU_DEP_4)
	v_add_f64_e32 v[130:131], v[4:5], v[94:95]
	v_add_f64_e32 v[4:5], v[0:1], v[116:117]
	v_add_f64_e64 v[0:1], v[0:1], -v[116:117]
	v_add_f64_e32 v[116:117], v[66:67], v[118:119]
	s_delay_alu instid0(VALU_DEP_4)
	v_add_f64_e32 v[6:7], v[2:3], v[130:131]
	v_add_f64_e64 v[2:3], v[2:3], -v[130:131]
	ds_load_b128 v[130:133], v92 offset:6912
	global_wb scope:SCOPE_SE
	s_wait_storecnt_dscnt 0x0
	s_barrier_signal -1
	s_barrier_wait -1
	global_inv scope:SCOPE_SE
	ds_store_b128 v128, v[20:23]
	ds_store_b128 v128, v[16:19] offset:1728
	v_add_f64_e32 v[16:17], v[44:45], v[76:77]
	v_add_f64_e32 v[18:19], v[40:41], v[68:69]
	v_add_f64_e64 v[40:41], v[40:41], -v[68:69]
	v_add_f64_e64 v[44:45], v[44:45], -v[76:77]
	v_fma_f64 v[116:117], v[116:117], -0.5, v[130:131]
	v_add_f64_e32 v[130:131], v[130:131], v[66:67]
	v_fma_f64 v[138:139], v[134:135], -0.5, v[132:133]
	v_add_f64_e32 v[132:133], v[132:133], v[74:75]
	v_add_f64_e64 v[74:75], v[74:75], -v[96:97]
	v_add_f64_e64 v[66:67], v[66:67], -v[118:119]
	v_fma_f64 v[24:25], v[16:17], -0.5, v[24:25]
	v_fma_f64 v[26:27], v[18:19], -0.5, v[26:27]
	v_add_f64_e32 v[134:135], v[130:131], v[118:119]
	v_add_f64_e32 v[130:131], v[48:49], v[90:91]
	;; [unrolled: 1-line block ×3, first 2 shown]
	v_fma_f64 v[18:19], v[40:41], s[12:13], v[24:25]
	v_fma_f64 v[24:25], v[40:41], s[14:15], v[24:25]
	;; [unrolled: 1-line block ×5, first 2 shown]
	v_add_f64_e32 v[140:141], v[130:131], v[102:103]
	v_add_f64_e32 v[130:131], v[62:63], v[84:85]
	v_mul_f64_e32 v[30:31], -0.5, v[24:25]
	v_mul_f64_e32 v[20:21], s[12:13], v[16:17]
	s_delay_alu instid0(VALU_DEP_3)
	v_add_f64_e32 v[142:143], v[130:131], v[100:101]
	v_add_f64_e32 v[130:131], v[134:135], v[140:141]
	v_add_f64_e64 v[134:135], v[134:135], -v[140:141]
	v_fma_f64 v[30:31], v[26:27], s[12:13], v[30:31]
	v_mul_f64_e32 v[26:27], -0.5, v[26:27]
	v_fma_f64 v[20:21], v[18:19], 0.5, v[20:21]
	v_mul_f64_e32 v[18:19], s[14:15], v[18:19]
	v_add_f64_e32 v[132:133], v[136:137], v[142:143]
	v_add_f64_e64 v[136:137], v[136:137], -v[142:143]
	v_fma_f64 v[44:45], v[24:25], s[14:15], v[26:27]
	v_add_f64_e32 v[24:25], v[32:33], v[30:31]
	v_add_f64_e64 v[30:31], v[32:33], -v[30:31]
	v_fma_f64 v[22:23], v[16:17], 0.5, v[18:19]
	v_add_f64_e32 v[16:17], v[50:51], v[20:21]
	v_add_f64_e64 v[20:21], v[50:51], -v[20:21]
	v_add_f64_e64 v[50:51], v[60:61], -v[88:89]
	v_add_f64_e32 v[26:27], v[40:41], v[44:45]
	v_add_f64_e64 v[32:33], v[40:41], -v[44:45]
	v_add_f64_e32 v[40:41], v[60:61], v[88:89]
	v_add_f64_e32 v[44:45], v[54:55], v[82:83]
	v_add_f64_e64 v[54:55], v[54:55], -v[82:83]
	v_add_f64_e64 v[60:61], v[38:39], -v[64:65]
	v_add_f64_e32 v[18:19], v[56:57], v[22:23]
	v_add_f64_e64 v[22:23], v[56:57], -v[22:23]
	v_add_f64_e64 v[56:57], v[42:43], -v[72:73]
	v_fma_f64 v[82:83], v[66:67], s[14:15], v[138:139]
	v_fma_f64 v[66:67], v[66:67], s[12:13], v[138:139]
	ds_store_b128 v128, v[16:19] offset:576
	ds_store_b128 v128, v[24:27] offset:1152
	v_fma_f64 v[28:29], v[40:41], -0.5, v[28:29]
	v_fma_f64 v[34:35], v[44:45], -0.5, v[34:35]
	v_fma_f64 v[64:65], v[56:57], s[12:13], v[108:109]
	v_fma_f64 v[68:69], v[60:61], s[14:15], v[110:111]
	;; [unrolled: 1-line block ×3, first 2 shown]
	v_mad_u16 v16, 0xd8, v123, v126
	scratch_store_b32 off, v128, off offset:1056 ; 4-byte Folded Spill
	ds_store_b128 v128, v[20:23] offset:2304
	ds_store_b128 v128, v[30:33] offset:2880
	v_and_b32_e32 v16, 0xffff, v16
	s_delay_alu instid0(VALU_DEP_1) | instskip(SKIP_4) | instid1(VALU_DEP_3)
	v_lshlrev_b32_e32 v167, 4, v16
	v_fma_f64 v[40:41], v[54:55], s[12:13], v[28:29]
	v_fma_f64 v[28:29], v[54:55], s[14:15], v[28:29]
	;; [unrolled: 1-line block ×4, first 2 shown]
	v_mul_f64_e32 v[50:51], -0.5, v[28:29]
	s_delay_alu instid0(VALU_DEP_3) | instskip(NEXT) | instid1(VALU_DEP_2)
	v_mul_f64_e32 v[42:43], s[12:13], v[38:39]
	v_fma_f64 v[50:51], v[34:35], s[12:13], v[50:51]
	v_mul_f64_e32 v[34:35], -0.5, v[34:35]
	s_delay_alu instid0(VALU_DEP_3) | instskip(SKIP_1) | instid1(VALU_DEP_3)
	v_fma_f64 v[42:43], v[40:41], 0.5, v[42:43]
	v_mul_f64_e32 v[40:41], s[14:15], v[40:41]
	v_fma_f64 v[28:29], v[28:29], s[14:15], v[34:35]
	v_add_f64_e32 v[34:35], v[70:71], v[94:95]
	s_delay_alu instid0(VALU_DEP_3)
	v_fma_f64 v[44:45], v[38:39], 0.5, v[40:41]
	v_add_f64_e32 v[38:39], v[64:65], v[42:43]
	v_add_f64_e64 v[42:43], v[64:65], -v[42:43]
	v_fma_f64 v[64:65], v[56:57], s[14:15], v[108:109]
	v_add_f64_e32 v[56:57], v[60:61], v[28:29]
	v_add_f64_e64 v[110:111], v[60:61], -v[28:29]
	v_add_f64_e32 v[28:29], v[78:79], v[98:99]
	v_add_f64_e64 v[60:61], v[78:79], -v[98:99]
	v_fma_f64 v[46:47], v[34:35], -0.5, v[46:47]
	v_add_f64_e32 v[40:41], v[68:69], v[44:45]
	v_add_f64_e64 v[44:45], v[68:69], -v[44:45]
	v_add_f64_e64 v[68:69], v[70:71], -v[94:95]
	v_add_f64_e32 v[54:55], v[64:65], v[50:51]
	v_add_f64_e64 v[108:109], v[64:65], -v[50:51]
	v_fma_f64 v[70:71], v[58:59], s[12:13], v[104:105]
	v_add_f64_e64 v[64:65], v[52:53], -v[80:81]
	v_add_f64_e64 v[78:79], v[84:85], -v[100:101]
	v_fma_f64 v[80:81], v[74:75], s[12:13], v[116:117]
	ds_store_b128 v167, v[12:15]
	ds_store_b128 v167, v[38:41] offset:576
	ds_store_b128 v167, v[54:57] offset:1152
	;; [unrolled: 1-line block ×5, first 2 shown]
	v_fma_f64 v[28:29], v[28:29], -0.5, v[36:37]
	v_fma_f64 v[34:35], v[60:61], s[14:15], v[46:47]
	v_fma_f64 v[46:47], v[60:61], s[12:13], v[46:47]
	v_mad_u16 v8, 0xd8, v124, v122
	v_fma_f64 v[72:73], v[64:65], s[14:15], v[106:107]
	v_fma_f64 v[64:65], v[64:65], s[12:13], v[106:107]
	s_delay_alu instid0(VALU_DEP_3) | instskip(NEXT) | instid1(VALU_DEP_1)
	v_and_b32_e32 v8, 0xffff, v8
	v_lshlrev_b32_e32 v8, 4, v8
	scratch_store_b32 off, v8, off offset:1052 ; 4-byte Folded Spill
	v_fma_f64 v[36:37], v[68:69], s[12:13], v[28:29]
	v_mul_f64_e32 v[50:51], s[12:13], v[34:35]
	v_fma_f64 v[28:29], v[68:69], s[14:15], v[28:29]
	v_fma_f64 v[68:69], v[58:59], s[14:15], v[104:105]
	s_delay_alu instid0(VALU_DEP_3) | instskip(SKIP_1) | instid1(VALU_DEP_4)
	v_fma_f64 v[50:51], v[36:37], 0.5, v[50:51]
	v_mul_f64_e32 v[36:37], s[14:15], v[36:37]
	v_mul_f64_e32 v[58:59], -0.5, v[28:29]
	s_delay_alu instid0(VALU_DEP_2) | instskip(NEXT) | instid1(VALU_DEP_4)
	v_fma_f64 v[52:53], v[34:35], 0.5, v[36:37]
	v_add_f64_e32 v[34:35], v[70:71], v[50:51]
	v_add_f64_e64 v[50:51], v[70:71], -v[50:51]
	s_delay_alu instid0(VALU_DEP_4)
	v_fma_f64 v[70:71], v[46:47], s[12:13], v[58:59]
	v_mul_f64_e32 v[46:47], -0.5, v[46:47]
	v_add_f64_e32 v[36:37], v[72:73], v[52:53]
	v_add_f64_e64 v[52:53], v[72:73], -v[52:53]
	v_add_f64_e64 v[72:73], v[90:91], -v[102:103]
	v_add_f64_e32 v[58:59], v[68:69], v[70:71]
	v_fma_f64 v[28:29], v[28:29], s[14:15], v[46:47]
	v_add_f64_e32 v[46:47], v[84:85], v[100:101]
	v_add_f64_e64 v[68:69], v[68:69], -v[70:71]
	s_delay_alu instid0(VALU_DEP_3)
	v_add_f64_e32 v[60:61], v[64:65], v[28:29]
	v_add_f64_e64 v[70:71], v[64:65], -v[28:29]
	v_add_f64_e32 v[28:29], v[90:91], v[102:103]
	v_fma_f64 v[76:77], v[46:47], -0.5, v[62:63]
	ds_store_b128 v8, v[4:7]
	ds_store_b128 v8, v[34:37] offset:576
	ds_store_b128 v8, v[58:61] offset:1152
	;; [unrolled: 1-line block ×5, first 2 shown]
	v_mad_u16 v0, 0xd8, v125, v127
	v_fma_f64 v[28:29], v[28:29], -0.5, v[48:49]
	v_fma_f64 v[46:47], v[72:73], s[14:15], v[76:77]
	v_fma_f64 v[72:73], v[72:73], s[12:13], v[76:77]
	s_delay_alu instid0(VALU_DEP_4) | instskip(NEXT) | instid1(VALU_DEP_1)
	v_and_b32_e32 v0, 0xffff, v0
	v_lshlrev_b32_e32 v0, 4, v0
	scratch_store_b32 off, v0, off offset:1048 ; 4-byte Folded Spill
	v_fma_f64 v[48:49], v[78:79], s[12:13], v[28:29]
	v_fma_f64 v[28:29], v[78:79], s[14:15], v[28:29]
	v_mul_f64_e32 v[62:63], s[12:13], v[46:47]
	v_fma_f64 v[78:79], v[74:75], s[14:15], v[116:117]
	s_delay_alu instid0(VALU_DEP_3) | instskip(NEXT) | instid1(VALU_DEP_3)
	v_mul_f64_e32 v[74:75], -0.5, v[28:29]
	v_fma_f64 v[62:63], v[48:49], 0.5, v[62:63]
	v_mul_f64_e32 v[48:49], s[14:15], v[48:49]
	s_delay_alu instid0(VALU_DEP_3) | instskip(SKIP_1) | instid1(VALU_DEP_3)
	v_fma_f64 v[76:77], v[72:73], s[12:13], v[74:75]
	v_mul_f64_e32 v[72:73], -0.5, v[72:73]
	v_fma_f64 v[64:65], v[46:47], 0.5, v[48:49]
	v_add_f64_e32 v[46:47], v[80:81], v[62:63]
	v_add_f64_e64 v[62:63], v[80:81], -v[62:63]
	s_delay_alu instid0(VALU_DEP_4) | instskip(NEXT) | instid1(VALU_DEP_4)
	v_fma_f64 v[28:29], v[28:29], s[14:15], v[72:73]
	v_add_f64_e32 v[48:49], v[82:83], v[64:65]
	v_add_f64_e32 v[72:73], v[78:79], v[76:77]
	v_add_f64_e64 v[64:65], v[82:83], -v[64:65]
	v_add_f64_e64 v[76:77], v[78:79], -v[76:77]
	v_add_f64_e32 v[74:75], v[66:67], v[28:29]
	v_add_f64_e64 v[78:79], v[66:67], -v[28:29]
	v_mad_co_u64_u32 v[28:29], null, v149, 48, s[10:11]
	ds_store_b128 v0, v[130:133]
	ds_store_b128 v0, v[46:49] offset:576
	ds_store_b128 v0, v[72:75] offset:1152
	;; [unrolled: 1-line block ×5, first 2 shown]
	global_wb scope:SCOPE_SE
	s_wait_storecnt_dscnt 0x0
	s_barrier_signal -1
	s_barrier_wait -1
	global_inv scope:SCOPE_SE
	s_clause 0x3
	global_load_b128 v[248:251], v[28:29], off offset:3360
	global_load_b128 v[244:247], v[28:29], off offset:3376
	;; [unrolled: 1-line block ×4, first 2 shown]
	ds_load_b128 v[0:3], v92 offset:13824
	s_clause 0x1
	global_load_b128 v[220:223], v[28:29], off offset:6832
	global_load_b128 v[216:219], v[28:29], off offset:6848
	scratch_store_b32 off, v149, off offset:396 ; 4-byte Folded Spill
	s_wait_loadcnt_dscnt 0x500
	v_mul_f64_e32 v[4:5], v[2:3], v[250:251]
	s_delay_alu instid0(VALU_DEP_1) | instskip(SKIP_1) | instid1(VALU_DEP_1)
	v_fma_f64 v[78:79], v[0:1], v[248:249], -v[4:5]
	v_mul_f64_e32 v[0:1], v[0:1], v[250:251]
	v_fma_f64 v[80:81], v[2:3], v[248:249], v[0:1]
	ds_load_b128 v[0:3], v92 offset:27648
	s_wait_loadcnt_dscnt 0x400
	v_mul_f64_e32 v[4:5], v[2:3], v[246:247]
	s_delay_alu instid0(VALU_DEP_1) | instskip(SKIP_1) | instid1(VALU_DEP_1)
	v_fma_f64 v[4:5], v[0:1], v[244:245], -v[4:5]
	v_mul_f64_e32 v[0:1], v[0:1], v[246:247]
	v_fma_f64 v[6:7], v[2:3], v[244:245], v[0:1]
	ds_load_b128 v[0:3], v92 offset:41472
	s_wait_loadcnt_dscnt 0x300
	v_mul_f64_e32 v[8:9], v[2:3], v[242:243]
	s_delay_alu instid0(VALU_DEP_1) | instskip(SKIP_1) | instid1(VALU_DEP_2)
	v_fma_f64 v[8:9], v[0:1], v[240:241], -v[8:9]
	v_mul_f64_e32 v[0:1], v[0:1], v[242:243]
	v_add_f64_e64 v[100:101], v[78:79], -v[8:9]
	s_delay_alu instid0(VALU_DEP_2) | instskip(SKIP_1) | instid1(VALU_DEP_1)
	v_fma_f64 v[10:11], v[2:3], v[240:241], v[0:1]
	v_add_nc_u32_e32 v0, 0xffffffb8, v149
	v_cndmask_b32_e32 v108, v0, v120, vcc_lo
	s_delay_alu instid0(VALU_DEP_1) | instskip(SKIP_1) | instid1(VALU_DEP_2)
	v_mul_i32_i24_e32 v0, 48, v108
	v_mul_hi_i32_i24_e32 v1, 48, v108
	v_add_co_u32 v12, vcc_lo, s10, v0
	s_wait_alu 0xfffd
	s_delay_alu instid0(VALU_DEP_2)
	v_add_co_ci_u32_e32 v13, vcc_lo, s11, v1, vcc_lo
	ds_load_b128 v[0:3], v92 offset:16128
	v_cmp_lt_u16_e32 vcc_lo, 0x47, v93
	s_clause 0x2
	global_load_b128 v[236:239], v[12:13], off offset:3360
	global_load_b128 v[232:235], v[12:13], off offset:3376
	global_load_b128 v[228:231], v[12:13], off offset:3392
	v_add_f64_e64 v[98:99], v[80:81], -v[10:11]
	s_wait_loadcnt_dscnt 0x200
	v_mul_f64_e32 v[14:15], v[2:3], v[238:239]
	s_delay_alu instid0(VALU_DEP_1) | instskip(SKIP_1) | instid1(VALU_DEP_1)
	v_fma_f64 v[82:83], v[0:1], v[236:237], -v[14:15]
	v_mul_f64_e32 v[0:1], v[0:1], v[238:239]
	v_fma_f64 v[84:85], v[2:3], v[236:237], v[0:1]
	ds_load_b128 v[0:3], v92 offset:29952
	s_wait_loadcnt_dscnt 0x100
	v_mul_f64_e32 v[14:15], v[2:3], v[234:235]
	s_delay_alu instid0(VALU_DEP_1) | instskip(SKIP_1) | instid1(VALU_DEP_1)
	v_fma_f64 v[86:87], v[0:1], v[232:233], -v[14:15]
	v_mul_f64_e32 v[0:1], v[0:1], v[234:235]
	v_fma_f64 v[88:89], v[2:3], v[232:233], v[0:1]
	ds_load_b128 v[0:3], v92 offset:43776
	;; [unrolled: 7-line block ×3, first 2 shown]
	s_wait_dscnt 0x0
	v_mul_f64_e32 v[12:13], v[2:3], v[226:227]
	s_delay_alu instid0(VALU_DEP_1) | instskip(SKIP_1) | instid1(VALU_DEP_1)
	v_fma_f64 v[66:67], v[0:1], v[224:225], -v[12:13]
	v_mul_f64_e32 v[0:1], v[0:1], v[226:227]
	v_fma_f64 v[68:69], v[2:3], v[224:225], v[0:1]
	ds_load_b128 v[0:3], v92 offset:32256
	s_wait_dscnt 0x0
	v_mul_f64_e32 v[12:13], v[2:3], v[222:223]
	s_delay_alu instid0(VALU_DEP_1) | instskip(SKIP_1) | instid1(VALU_DEP_1)
	v_fma_f64 v[70:71], v[0:1], v[220:221], -v[12:13]
	v_mul_f64_e32 v[0:1], v[0:1], v[222:223]
	v_fma_f64 v[72:73], v[2:3], v[220:221], v[0:1]
	ds_load_b128 v[0:3], v92 offset:46080
	s_wait_dscnt 0x0
	v_mul_f64_e32 v[12:13], v[2:3], v[218:219]
	s_delay_alu instid0(VALU_DEP_1) | instskip(SKIP_1) | instid1(VALU_DEP_1)
	v_fma_f64 v[74:75], v[0:1], v[216:217], -v[12:13]
	v_mul_f64_e32 v[0:1], v[0:1], v[218:219]
	v_fma_f64 v[76:77], v[2:3], v[216:217], v[0:1]
	v_lshrrev_b16 v0, 3, v121
	s_delay_alu instid0(VALU_DEP_1) | instskip(NEXT) | instid1(VALU_DEP_1)
	v_and_b32_e32 v0, 0xffff, v0
	v_mul_u32_u24_e32 v0, 0x12f7, v0
	s_delay_alu instid0(VALU_DEP_1) | instskip(NEXT) | instid1(VALU_DEP_1)
	v_lshrrev_b32_e32 v0, 17, v0
	v_mul_lo_u16 v0, 0xd8, v0
	s_delay_alu instid0(VALU_DEP_1) | instskip(NEXT) | instid1(VALU_DEP_1)
	v_sub_nc_u16 v107, v121, v0
	v_mul_lo_u16 v0, v107, 48
	s_delay_alu instid0(VALU_DEP_1) | instskip(NEXT) | instid1(VALU_DEP_1)
	v_and_b32_e32 v0, 0xffff, v0
	v_add_co_u32 v12, s16, s10, v0
	s_wait_alu 0xf1ff
	v_add_co_ci_u32_e64 v13, null, s11, 0, s16
	ds_load_b128 v[0:3], v92 offset:20736
	s_clause 0x2
	global_load_b128 v[204:207], v[12:13], off offset:3392
	global_load_b128 v[212:215], v[12:13], off offset:3360
	;; [unrolled: 1-line block ×3, first 2 shown]
	s_wait_loadcnt_dscnt 0x100
	v_mul_f64_e32 v[14:15], v[2:3], v[214:215]
	s_delay_alu instid0(VALU_DEP_1) | instskip(SKIP_1) | instid1(VALU_DEP_1)
	v_fma_f64 v[54:55], v[0:1], v[212:213], -v[14:15]
	v_mul_f64_e32 v[0:1], v[0:1], v[214:215]
	v_fma_f64 v[56:57], v[2:3], v[212:213], v[0:1]
	ds_load_b128 v[0:3], v92 offset:34560
	s_wait_loadcnt_dscnt 0x0
	v_mul_f64_e32 v[14:15], v[2:3], v[210:211]
	s_delay_alu instid0(VALU_DEP_1) | instskip(SKIP_1) | instid1(VALU_DEP_1)
	v_fma_f64 v[58:59], v[0:1], v[208:209], -v[14:15]
	v_mul_f64_e32 v[0:1], v[0:1], v[210:211]
	v_fma_f64 v[60:61], v[2:3], v[208:209], v[0:1]
	ds_load_b128 v[0:3], v92 offset:48384
	s_wait_dscnt 0x0
	v_mul_f64_e32 v[12:13], v[2:3], v[206:207]
	s_delay_alu instid0(VALU_DEP_1) | instskip(SKIP_1) | instid1(VALU_DEP_1)
	v_fma_f64 v[62:63], v[0:1], v[204:205], -v[12:13]
	v_mul_f64_e32 v[0:1], v[0:1], v[206:207]
	v_fma_f64 v[64:65], v[2:3], v[204:205], v[0:1]
	v_add_nc_u16 v0, v93, 0x240
	s_delay_alu instid0(VALU_DEP_1) | instskip(NEXT) | instid1(VALU_DEP_1)
	v_lshrrev_b16 v1, 3, v0
	v_and_b32_e32 v1, 0xffff, v1
	s_delay_alu instid0(VALU_DEP_1) | instskip(NEXT) | instid1(VALU_DEP_1)
	v_mul_u32_u24_e32 v1, 0x12f7, v1
	v_lshrrev_b32_e32 v105, 17, v1
	s_delay_alu instid0(VALU_DEP_1) | instskip(NEXT) | instid1(VALU_DEP_1)
	v_mul_lo_u16 v1, 0xd8, v105
	v_sub_nc_u16 v106, v0, v1
	s_delay_alu instid0(VALU_DEP_1) | instskip(NEXT) | instid1(VALU_DEP_1)
	v_mul_lo_u16 v0, v106, 48
	v_and_b32_e32 v0, 0xffff, v0
	s_delay_alu instid0(VALU_DEP_1)
	v_add_co_u32 v12, s16, s10, v0
	s_wait_alu 0xf1ff
	v_add_co_ci_u32_e64 v13, null, s11, 0, s16
	ds_load_b128 v[0:3], v92 offset:23040
	s_clause 0x2
	global_load_b128 v[200:203], v[12:13], off offset:3360
	global_load_b128 v[196:199], v[12:13], off offset:3376
	;; [unrolled: 1-line block ×3, first 2 shown]
	s_wait_loadcnt_dscnt 0x200
	v_mul_f64_e32 v[14:15], v[2:3], v[202:203]
	s_delay_alu instid0(VALU_DEP_1) | instskip(SKIP_1) | instid1(VALU_DEP_1)
	v_fma_f64 v[42:43], v[0:1], v[200:201], -v[14:15]
	v_mul_f64_e32 v[0:1], v[0:1], v[202:203]
	v_fma_f64 v[44:45], v[2:3], v[200:201], v[0:1]
	ds_load_b128 v[0:3], v92 offset:36864
	s_wait_loadcnt_dscnt 0x100
	v_mul_f64_e32 v[14:15], v[2:3], v[198:199]
	s_delay_alu instid0(VALU_DEP_1) | instskip(SKIP_1) | instid1(VALU_DEP_1)
	v_fma_f64 v[46:47], v[0:1], v[196:197], -v[14:15]
	v_mul_f64_e32 v[0:1], v[0:1], v[198:199]
	v_fma_f64 v[48:49], v[2:3], v[196:197], v[0:1]
	ds_load_b128 v[0:3], v92 offset:50688
	s_wait_loadcnt_dscnt 0x0
	v_mul_f64_e32 v[12:13], v[2:3], v[194:195]
	s_delay_alu instid0(VALU_DEP_1) | instskip(SKIP_1) | instid1(VALU_DEP_1)
	v_fma_f64 v[50:51], v[0:1], v[192:193], -v[12:13]
	v_mul_f64_e32 v[0:1], v[0:1], v[194:195]
	v_fma_f64 v[52:53], v[2:3], v[192:193], v[0:1]
	v_add_nc_u16 v0, v93, 0x2d0
	s_delay_alu instid0(VALU_DEP_1) | instskip(NEXT) | instid1(VALU_DEP_1)
	v_lshrrev_b16 v1, 3, v0
	v_and_b32_e32 v1, 0xffff, v1
	s_delay_alu instid0(VALU_DEP_1) | instskip(NEXT) | instid1(VALU_DEP_1)
	v_mul_u32_u24_e32 v1, 0x12f7, v1
	v_lshrrev_b32_e32 v1, 17, v1
	s_delay_alu instid0(VALU_DEP_1) | instskip(NEXT) | instid1(VALU_DEP_1)
	v_mul_lo_u16 v1, 0xd8, v1
	v_sub_nc_u16 v104, v0, v1
	s_delay_alu instid0(VALU_DEP_1) | instskip(NEXT) | instid1(VALU_DEP_1)
	v_mul_lo_u16 v0, v104, 48
	v_and_b32_e32 v0, 0xffff, v0
	s_delay_alu instid0(VALU_DEP_1)
	v_add_co_u32 v12, s16, s10, v0
	s_wait_alu 0xf1ff
	v_add_co_ci_u32_e64 v13, null, s11, 0, s16
	ds_load_b128 v[0:3], v92 offset:25344
	s_clause 0x2
	global_load_b128 v[168:171], v[12:13], off offset:3392
	global_load_b128 v[188:191], v[12:13], off offset:3360
	;; [unrolled: 1-line block ×3, first 2 shown]
	s_wait_loadcnt_dscnt 0x100
	v_mul_f64_e32 v[14:15], v[2:3], v[190:191]
	s_delay_alu instid0(VALU_DEP_1) | instskip(SKIP_1) | instid1(VALU_DEP_1)
	v_fma_f64 v[30:31], v[0:1], v[188:189], -v[14:15]
	v_mul_f64_e32 v[0:1], v[0:1], v[190:191]
	v_fma_f64 v[32:33], v[2:3], v[188:189], v[0:1]
	ds_load_b128 v[0:3], v92 offset:39168
	s_wait_loadcnt_dscnt 0x0
	v_mul_f64_e32 v[14:15], v[2:3], v[186:187]
	s_delay_alu instid0(VALU_DEP_1) | instskip(SKIP_1) | instid1(VALU_DEP_1)
	v_fma_f64 v[34:35], v[0:1], v[184:185], -v[14:15]
	v_mul_f64_e32 v[0:1], v[0:1], v[186:187]
	v_fma_f64 v[36:37], v[2:3], v[184:185], v[0:1]
	ds_load_b128 v[0:3], v92 offset:52992
	s_wait_dscnt 0x0
	v_mul_f64_e32 v[12:13], v[2:3], v[170:171]
	s_delay_alu instid0(VALU_DEP_1) | instskip(SKIP_1) | instid1(VALU_DEP_1)
	v_fma_f64 v[38:39], v[0:1], v[168:169], -v[12:13]
	v_mul_f64_e32 v[0:1], v[0:1], v[170:171]
	v_fma_f64 v[40:41], v[2:3], v[168:169], v[0:1]
	ds_load_b128 v[0:3], v92
	s_wait_dscnt 0x0
	v_add_f64_e64 v[4:5], v[0:1], -v[4:5]
	v_add_f64_e64 v[6:7], v[2:3], -v[6:7]
	s_delay_alu instid0(VALU_DEP_2) | instskip(NEXT) | instid1(VALU_DEP_2)
	v_add_f64_e64 v[16:17], v[4:5], -v[98:99]
	v_add_f64_e32 v[18:19], v[6:7], v[100:101]
	v_fma_f64 v[94:95], v[0:1], 2.0, -v[4:5]
	v_fma_f64 v[96:97], v[2:3], 2.0, -v[6:7]
	s_delay_alu instid0(VALU_DEP_4) | instskip(NEXT) | instid1(VALU_DEP_4)
	v_fma_f64 v[20:21], v[4:5], 2.0, -v[16:17]
	v_fma_f64 v[22:23], v[6:7], 2.0, -v[18:19]
	ds_load_b128 v[12:15], v92 offset:2304
	ds_load_b128 v[8:11], v92 offset:4608
	;; [unrolled: 1-line block ×5, first 2 shown]
	global_wb scope:SCOPE_SE
	s_wait_storecnt_dscnt 0x0
	s_barrier_signal -1
	s_barrier_wait -1
	global_inv scope:SCOPE_SE
	ds_store_b128 v92, v[16:19] offset:10368
	ds_store_b128 v92, v[20:23] offset:3456
	v_fma_f64 v[16:17], v[78:79], 2.0, -v[100:101]
	v_fma_f64 v[18:19], v[80:81], 2.0, -v[98:99]
	v_add_f64_e64 v[78:79], v[82:83], -v[90:91]
	v_add_f64_e64 v[80:81], v[84:85], -v[102:103]
	s_delay_alu instid0(VALU_DEP_4) | instskip(NEXT) | instid1(VALU_DEP_4)
	v_add_f64_e64 v[16:17], v[94:95], -v[16:17]
	v_add_f64_e64 v[18:19], v[96:97], -v[18:19]
	s_delay_alu instid0(VALU_DEP_2) | instskip(NEXT) | instid1(VALU_DEP_2)
	v_fma_f64 v[20:21], v[94:95], 2.0, -v[16:17]
	v_fma_f64 v[22:23], v[96:97], 2.0, -v[18:19]
	ds_store_b128 v92, v[16:19] offset:6912
	ds_store_b128 v92, v[20:23]
	v_add_f64_e64 v[20:21], v[12:13], -v[86:87]
	v_add_f64_e64 v[22:23], v[14:15], -v[88:89]
	s_delay_alu instid0(VALU_DEP_2) | instskip(NEXT) | instid1(VALU_DEP_2)
	v_fma_f64 v[16:17], v[12:13], 2.0, -v[20:21]
	v_fma_f64 v[18:19], v[14:15], 2.0, -v[22:23]
	;; [unrolled: 1-line block ×4, first 2 shown]
	s_wait_alu 0xfffd
	v_cndmask_b32_e64 v82, 0, 0x360, vcc_lo
	s_delay_alu instid0(VALU_DEP_1) | instskip(SKIP_3) | instid1(VALU_DEP_2)
	v_add_lshl_u32 v82, v108, v82, 4
	scratch_store_b32 off, v82, off offset:1072 ; 4-byte Folded Spill
	v_add_f64_e64 v[12:13], v[16:17], -v[12:13]
	v_add_f64_e64 v[14:15], v[18:19], -v[14:15]
	v_fma_f64 v[16:17], v[16:17], 2.0, -v[12:13]
	s_delay_alu instid0(VALU_DEP_2) | instskip(SKIP_3) | instid1(VALU_DEP_2)
	v_fma_f64 v[18:19], v[18:19], 2.0, -v[14:15]
	ds_store_b128 v82, v[16:19]
	v_add_f64_e64 v[16:17], v[20:21], -v[80:81]
	v_add_f64_e32 v[18:19], v[22:23], v[78:79]
	v_fma_f64 v[20:21], v[20:21], 2.0, -v[16:17]
	s_delay_alu instid0(VALU_DEP_2)
	v_fma_f64 v[22:23], v[22:23], 2.0, -v[18:19]
	ds_store_b128 v82, v[20:23] offset:3456
	ds_store_b128 v82, v[12:15] offset:6912
	;; [unrolled: 1-line block ×3, first 2 shown]
	v_add_f64_e64 v[16:17], v[8:9], -v[70:71]
	v_add_f64_e64 v[18:19], v[10:11], -v[72:73]
	v_add_f64_e64 v[20:21], v[66:67], -v[74:75]
	v_add_f64_e64 v[22:23], v[68:69], -v[76:77]
	s_delay_alu instid0(VALU_DEP_4) | instskip(NEXT) | instid1(VALU_DEP_4)
	v_fma_f64 v[12:13], v[8:9], 2.0, -v[16:17]
	v_fma_f64 v[14:15], v[10:11], 2.0, -v[18:19]
	s_delay_alu instid0(VALU_DEP_4) | instskip(NEXT) | instid1(VALU_DEP_4)
	v_fma_f64 v[8:9], v[66:67], 2.0, -v[20:21]
	v_fma_f64 v[10:11], v[68:69], 2.0, -v[22:23]
	s_delay_alu instid0(VALU_DEP_2) | instskip(NEXT) | instid1(VALU_DEP_2)
	v_add_f64_e64 v[8:9], v[12:13], -v[8:9]
	v_add_f64_e64 v[10:11], v[14:15], -v[10:11]
	s_delay_alu instid0(VALU_DEP_2) | instskip(NEXT) | instid1(VALU_DEP_2)
	v_fma_f64 v[12:13], v[12:13], 2.0, -v[8:9]
	v_fma_f64 v[14:15], v[14:15], 2.0, -v[10:11]
	ds_store_b128 v92, v[12:15] offset:14976
	v_add_f64_e64 v[12:13], v[16:17], -v[22:23]
	v_add_f64_e32 v[14:15], v[18:19], v[20:21]
	v_and_b32_e32 v20, 0xffff, v107
	s_delay_alu instid0(VALU_DEP_1) | instskip(NEXT) | instid1(VALU_DEP_4)
	v_lshlrev_b32_e32 v20, 4, v20
	v_fma_f64 v[16:17], v[16:17], 2.0, -v[12:13]
	s_delay_alu instid0(VALU_DEP_4)
	v_fma_f64 v[18:19], v[18:19], 2.0, -v[14:15]
	ds_store_b128 v92, v[16:19] offset:18432
	ds_store_b128 v92, v[8:11] offset:21888
	;; [unrolled: 1-line block ×3, first 2 shown]
	v_add_f64_e64 v[12:13], v[4:5], -v[58:59]
	v_add_f64_e64 v[14:15], v[6:7], -v[60:61]
	;; [unrolled: 1-line block ×4, first 2 shown]
	scratch_store_b32 off, v20, off offset:1060 ; 4-byte Folded Spill
	v_fma_f64 v[8:9], v[4:5], 2.0, -v[12:13]
	v_fma_f64 v[10:11], v[6:7], 2.0, -v[14:15]
	;; [unrolled: 1-line block ×4, first 2 shown]
	s_delay_alu instid0(VALU_DEP_2) | instskip(NEXT) | instid1(VALU_DEP_2)
	v_add_f64_e64 v[4:5], v[8:9], -v[4:5]
	v_add_f64_e64 v[6:7], v[10:11], -v[6:7]
	s_delay_alu instid0(VALU_DEP_2) | instskip(NEXT) | instid1(VALU_DEP_2)
	v_fma_f64 v[8:9], v[8:9], 2.0, -v[4:5]
	v_fma_f64 v[10:11], v[10:11], 2.0, -v[6:7]
	ds_store_b128 v20, v[8:11] offset:27648
	v_add_f64_e64 v[8:9], v[12:13], -v[18:19]
	v_add_f64_e32 v[10:11], v[14:15], v[16:17]
	v_mad_u16 v16, 0x360, v105, v106
	s_delay_alu instid0(VALU_DEP_1) | instskip(NEXT) | instid1(VALU_DEP_1)
	v_and_b32_e32 v16, 0xffff, v16
	v_lshlrev_b32_e32 v16, 4, v16
	v_fma_f64 v[12:13], v[12:13], 2.0, -v[8:9]
	v_fma_f64 v[14:15], v[14:15], 2.0, -v[10:11]
	ds_store_b128 v20, v[12:15] offset:31104
	ds_store_b128 v20, v[4:7] offset:34560
	;; [unrolled: 1-line block ×3, first 2 shown]
	v_add_f64_e64 v[8:9], v[0:1], -v[46:47]
	v_add_f64_e64 v[10:11], v[2:3], -v[48:49]
	;; [unrolled: 1-line block ×4, first 2 shown]
	scratch_store_b32 off, v16, off offset:1064 ; 4-byte Folded Spill
	v_fma_f64 v[4:5], v[0:1], 2.0, -v[8:9]
	v_fma_f64 v[6:7], v[2:3], 2.0, -v[10:11]
	;; [unrolled: 1-line block ×4, first 2 shown]
	s_delay_alu instid0(VALU_DEP_2) | instskip(NEXT) | instid1(VALU_DEP_2)
	v_add_f64_e64 v[0:1], v[4:5], -v[0:1]
	v_add_f64_e64 v[2:3], v[6:7], -v[2:3]
	s_delay_alu instid0(VALU_DEP_2) | instskip(NEXT) | instid1(VALU_DEP_2)
	v_fma_f64 v[4:5], v[4:5], 2.0, -v[0:1]
	v_fma_f64 v[6:7], v[6:7], 2.0, -v[2:3]
	ds_store_b128 v16, v[4:7]
	v_add_f64_e64 v[4:5], v[8:9], -v[14:15]
	v_add_f64_e32 v[6:7], v[10:11], v[12:13]
	v_add_f64_e64 v[12:13], v[30:31], -v[38:39]
	v_add_f64_e64 v[14:15], v[32:33], -v[40:41]
	s_delay_alu instid0(VALU_DEP_4) | instskip(NEXT) | instid1(VALU_DEP_4)
	v_fma_f64 v[8:9], v[8:9], 2.0, -v[4:5]
	v_fma_f64 v[10:11], v[10:11], 2.0, -v[6:7]
	ds_store_b128 v16, v[8:11] offset:3456
	v_add_f64_e64 v[8:9], v[24:25], -v[34:35]
	v_add_f64_e64 v[10:11], v[26:27], -v[36:37]
	ds_store_b128 v16, v[0:3] offset:6912
	ds_store_b128 v16, v[4:7] offset:10368
	v_fma_f64 v[0:1], v[30:31], 2.0, -v[12:13]
	v_fma_f64 v[2:3], v[32:33], 2.0, -v[14:15]
	v_and_b32_e32 v16, 0xffff, v104
	s_delay_alu instid0(VALU_DEP_1) | instskip(SKIP_3) | instid1(VALU_DEP_2)
	v_lshlrev_b32_e32 v16, 4, v16
	scratch_store_b32 off, v16, off offset:1068 ; 4-byte Folded Spill
	v_fma_f64 v[4:5], v[24:25], 2.0, -v[8:9]
	v_fma_f64 v[6:7], v[26:27], 2.0, -v[10:11]
	v_add_f64_e64 v[0:1], v[4:5], -v[0:1]
	s_delay_alu instid0(VALU_DEP_2) | instskip(NEXT) | instid1(VALU_DEP_2)
	v_add_f64_e64 v[2:3], v[6:7], -v[2:3]
	v_fma_f64 v[4:5], v[4:5], 2.0, -v[0:1]
	s_delay_alu instid0(VALU_DEP_2) | instskip(SKIP_4) | instid1(VALU_DEP_3)
	v_fma_f64 v[6:7], v[6:7], 2.0, -v[2:3]
	ds_store_b128 v16, v[4:7] offset:41472
	v_add_f64_e64 v[4:5], v[8:9], -v[14:15]
	v_add_f64_e32 v[6:7], v[10:11], v[12:13]
	v_mad_co_u64_u32 v[12:13], null, v120, 48, s[10:11]
	v_fma_f64 v[8:9], v[8:9], 2.0, -v[4:5]
	s_delay_alu instid0(VALU_DEP_3)
	v_fma_f64 v[10:11], v[10:11], 2.0, -v[6:7]
	ds_store_b128 v16, v[8:11] offset:44928
	ds_store_b128 v16, v[0:3] offset:48384
	;; [unrolled: 1-line block ×3, first 2 shown]
	global_wb scope:SCOPE_SE
	s_wait_storecnt_dscnt 0x0
	s_barrier_signal -1
	s_barrier_wait -1
	global_inv scope:SCOPE_SE
	s_clause 0x4
	global_load_b128 v[180:183], v[28:29], off offset:13728
	global_load_b128 v[176:179], v[28:29], off offset:13744
	;; [unrolled: 1-line block ×5, first 2 shown]
	ds_load_b128 v[0:3], v92 offset:13824
	s_clause 0xc
	global_load_b128 v[151:154], v[12:13], off offset:13760
	global_load_b128 v[147:150], v[12:13], off offset:20640
	;; [unrolled: 1-line block ×13, first 2 shown]
	s_wait_loadcnt_dscnt 0x1100
	v_mul_f64_e32 v[4:5], v[2:3], v[182:183]
	s_delay_alu instid0(VALU_DEP_1) | instskip(SKIP_1) | instid1(VALU_DEP_1)
	v_fma_f64 v[20:21], v[0:1], v[180:181], -v[4:5]
	v_mul_f64_e32 v[0:1], v[0:1], v[182:183]
	v_fma_f64 v[22:23], v[2:3], v[180:181], v[0:1]
	ds_load_b128 v[0:3], v92 offset:27648
	s_wait_loadcnt_dscnt 0x1000
	v_mul_f64_e32 v[4:5], v[2:3], v[178:179]
	s_delay_alu instid0(VALU_DEP_1) | instskip(SKIP_1) | instid1(VALU_DEP_1)
	v_fma_f64 v[4:5], v[0:1], v[176:177], -v[4:5]
	v_mul_f64_e32 v[0:1], v[0:1], v[178:179]
	v_fma_f64 v[6:7], v[2:3], v[176:177], v[0:1]
	ds_load_b128 v[0:3], v92 offset:41472
	s_wait_loadcnt_dscnt 0xf00
	v_mul_f64_e32 v[8:9], v[2:3], v[174:175]
	s_delay_alu instid0(VALU_DEP_1) | instskip(SKIP_1) | instid1(VALU_DEP_2)
	v_fma_f64 v[8:9], v[0:1], v[172:173], -v[8:9]
	v_mul_f64_e32 v[0:1], v[0:1], v[174:175]
	v_add_f64_e64 v[54:55], v[20:21], -v[8:9]
	s_delay_alu instid0(VALU_DEP_2) | instskip(SKIP_4) | instid1(VALU_DEP_2)
	v_fma_f64 v[10:11], v[2:3], v[172:173], v[0:1]
	ds_load_b128 v[0:3], v92 offset:16128
	s_wait_loadcnt_dscnt 0xe00
	v_mul_f64_e32 v[14:15], v[2:3], v[161:162]
	v_add_f64_e64 v[52:53], v[22:23], -v[10:11]
	v_fma_f64 v[101:102], v[0:1], v[159:160], -v[14:15]
	v_mul_f64_e32 v[0:1], v[0:1], v[161:162]
	s_delay_alu instid0(VALU_DEP_1) | instskip(SKIP_3) | instid1(VALU_DEP_1)
	v_fma_f64 v[26:27], v[2:3], v[159:160], v[0:1]
	ds_load_b128 v[0:3], v92 offset:29952
	s_wait_loadcnt_dscnt 0xd00
	v_mul_f64_e32 v[14:15], v[2:3], v[157:158]
	v_fma_f64 v[14:15], v[0:1], v[155:156], -v[14:15]
	v_mul_f64_e32 v[0:1], v[0:1], v[157:158]
	s_delay_alu instid0(VALU_DEP_1) | instskip(SKIP_3) | instid1(VALU_DEP_1)
	v_fma_f64 v[16:17], v[2:3], v[155:156], v[0:1]
	ds_load_b128 v[0:3], v92 offset:43776
	s_wait_loadcnt_dscnt 0xc00
	v_mul_f64_e32 v[18:19], v[2:3], v[153:154]
	v_fma_f64 v[18:19], v[0:1], v[151:152], -v[18:19]
	v_mul_f64_e32 v[0:1], v[0:1], v[153:154]
	s_delay_alu instid0(VALU_DEP_2) | instskip(NEXT) | instid1(VALU_DEP_2)
	v_add_f64_e64 v[62:63], v[101:102], -v[18:19]
	v_fma_f64 v[56:57], v[2:3], v[151:152], v[0:1]
	ds_load_b128 v[0:3], v92 offset:18432
	s_wait_loadcnt_dscnt 0xb00
	v_mul_f64_e32 v[28:29], v[2:3], v[149:150]
	v_add_f64_e64 v[60:61], v[26:27], -v[56:57]
	s_delay_alu instid0(VALU_DEP_2) | instskip(SKIP_1) | instid1(VALU_DEP_1)
	v_fma_f64 v[28:29], v[0:1], v[147:148], -v[28:29]
	v_mul_f64_e32 v[0:1], v[0:1], v[149:150]
	v_fma_f64 v[30:31], v[2:3], v[147:148], v[0:1]
	ds_load_b128 v[0:3], v92 offset:32256
	s_wait_loadcnt_dscnt 0xa00
	v_mul_f64_e32 v[32:33], v[2:3], v[145:146]
	s_delay_alu instid0(VALU_DEP_1) | instskip(SKIP_1) | instid1(VALU_DEP_1)
	v_fma_f64 v[58:59], v[0:1], v[143:144], -v[32:33]
	v_mul_f64_e32 v[0:1], v[0:1], v[145:146]
	v_fma_f64 v[64:65], v[2:3], v[143:144], v[0:1]
	ds_load_b128 v[0:3], v92 offset:46080
	s_wait_loadcnt_dscnt 0x900
	v_mul_f64_e32 v[32:33], v[2:3], v[141:142]
	s_delay_alu instid0(VALU_DEP_1) | instskip(SKIP_1) | instid1(VALU_DEP_2)
	v_fma_f64 v[66:67], v[0:1], v[139:140], -v[32:33]
	v_mul_f64_e32 v[0:1], v[0:1], v[141:142]
	v_add_f64_e64 v[70:71], v[28:29], -v[66:67]
	s_delay_alu instid0(VALU_DEP_2) | instskip(SKIP_4) | instid1(VALU_DEP_2)
	v_fma_f64 v[68:69], v[2:3], v[139:140], v[0:1]
	ds_load_b128 v[0:3], v92 offset:20736
	s_wait_loadcnt_dscnt 0x800
	v_mul_f64_e32 v[32:33], v[2:3], v[137:138]
	v_add_f64_e64 v[68:69], v[30:31], -v[68:69]
	v_fma_f64 v[32:33], v[0:1], v[135:136], -v[32:33]
	v_mul_f64_e32 v[0:1], v[0:1], v[137:138]
	s_delay_alu instid0(VALU_DEP_1) | instskip(SKIP_3) | instid1(VALU_DEP_1)
	v_fma_f64 v[34:35], v[2:3], v[135:136], v[0:1]
	ds_load_b128 v[0:3], v92 offset:34560
	s_wait_loadcnt_dscnt 0x700
	v_mul_f64_e32 v[36:37], v[2:3], v[133:134]
	v_fma_f64 v[72:73], v[0:1], v[131:132], -v[36:37]
	v_mul_f64_e32 v[0:1], v[0:1], v[133:134]
	s_delay_alu instid0(VALU_DEP_1) | instskip(SKIP_3) | instid1(VALU_DEP_1)
	v_fma_f64 v[74:75], v[2:3], v[131:132], v[0:1]
	ds_load_b128 v[0:3], v92 offset:48384
	s_wait_loadcnt_dscnt 0x600
	v_mul_f64_e32 v[36:37], v[2:3], v[129:130]
	v_fma_f64 v[78:79], v[0:1], v[127:128], -v[36:37]
	v_mul_f64_e32 v[0:1], v[0:1], v[129:130]
	s_delay_alu instid0(VALU_DEP_2) | instskip(NEXT) | instid1(VALU_DEP_2)
	v_add_f64_e64 v[78:79], v[32:33], -v[78:79]
	v_fma_f64 v[76:77], v[2:3], v[127:128], v[0:1]
	ds_load_b128 v[0:3], v92 offset:23040
	s_wait_loadcnt_dscnt 0x500
	v_mul_f64_e32 v[36:37], v[2:3], v[125:126]
	v_add_f64_e64 v[76:77], v[34:35], -v[76:77]
	s_delay_alu instid0(VALU_DEP_2) | instskip(SKIP_1) | instid1(VALU_DEP_1)
	v_fma_f64 v[36:37], v[0:1], v[123:124], -v[36:37]
	v_mul_f64_e32 v[0:1], v[0:1], v[125:126]
	v_fma_f64 v[38:39], v[2:3], v[123:124], v[0:1]
	ds_load_b128 v[0:3], v92 offset:36864
	s_wait_loadcnt_dscnt 0x400
	v_mul_f64_e32 v[40:41], v[2:3], v[121:122]
	s_delay_alu instid0(VALU_DEP_1) | instskip(SKIP_1) | instid1(VALU_DEP_1)
	v_fma_f64 v[80:81], v[0:1], v[119:120], -v[40:41]
	v_mul_f64_e32 v[0:1], v[0:1], v[121:122]
	v_fma_f64 v[82:83], v[2:3], v[119:120], v[0:1]
	ds_load_b128 v[0:3], v92 offset:50688
	s_wait_loadcnt_dscnt 0x300
	v_mul_f64_e32 v[40:41], v[2:3], v[117:118]
	s_delay_alu instid0(VALU_DEP_1) | instskip(SKIP_1) | instid1(VALU_DEP_1)
	;; [unrolled: 7-line block ×4, first 2 shown]
	v_fma_f64 v[84:85], v[0:1], v[107:108], -v[44:45]
	v_mul_f64_e32 v[0:1], v[0:1], v[109:110]
	v_fma_f64 v[86:87], v[2:3], v[107:108], v[0:1]
	ds_load_b128 v[0:3], v92 offset:52992
	s_wait_loadcnt_dscnt 0x0
	v_mul_f64_e32 v[12:13], v[2:3], v[105:106]
	s_delay_alu instid0(VALU_DEP_1) | instskip(SKIP_1) | instid1(VALU_DEP_2)
	v_fma_f64 v[88:89], v[0:1], v[103:104], -v[12:13]
	v_mul_f64_e32 v[0:1], v[0:1], v[105:106]
	v_add_f64_e64 v[163:164], v[40:41], -v[88:89]
	s_delay_alu instid0(VALU_DEP_2)
	v_fma_f64 v[90:91], v[2:3], v[103:104], v[0:1]
	ds_load_b128 v[0:3], v92
	s_wait_dscnt 0x0
	v_add_f64_e64 v[12:13], v[0:1], -v[4:5]
	v_add_f64_e64 v[48:49], v[2:3], -v[6:7]
	;; [unrolled: 1-line block ×3, first 2 shown]
	s_delay_alu instid0(VALU_DEP_3) | instskip(NEXT) | instid1(VALU_DEP_3)
	v_add_f64_e64 v[4:5], v[12:13], -v[52:53]
	v_add_f64_e32 v[6:7], v[48:49], v[54:55]
	v_fma_f64 v[44:45], v[0:1], 2.0, -v[12:13]
	v_fma_f64 v[46:47], v[2:3], 2.0, -v[48:49]
	s_delay_alu instid0(VALU_DEP_4) | instskip(NEXT) | instid1(VALU_DEP_4)
	v_fma_f64 v[0:1], v[12:13], 2.0, -v[4:5]
	v_fma_f64 v[2:3], v[48:49], 2.0, -v[6:7]
	ds_store_b128 v92, v[4:7] offset:41472
	ds_load_b128 v[4:7], v92 offset:2304
	s_wait_dscnt 0x0
	v_add_f64_e64 v[12:13], v[4:5], -v[14:15]
	v_add_f64_e64 v[14:15], v[6:7], -v[16:17]
	s_delay_alu instid0(VALU_DEP_2) | instskip(NEXT) | instid1(VALU_DEP_2)
	v_add_f64_e64 v[8:9], v[12:13], -v[60:61]
	v_add_f64_e32 v[10:11], v[14:15], v[62:63]
	v_fma_f64 v[48:49], v[4:5], 2.0, -v[12:13]
	v_fma_f64 v[50:51], v[6:7], 2.0, -v[14:15]
	s_delay_alu instid0(VALU_DEP_4) | instskip(NEXT) | instid1(VALU_DEP_4)
	v_fma_f64 v[4:5], v[12:13], 2.0, -v[8:9]
	v_fma_f64 v[6:7], v[14:15], 2.0, -v[10:11]
	ds_store_b128 v92, v[8:11] offset:43776
	ds_load_b128 v[8:11], v92 offset:4608
	s_wait_dscnt 0x0
	v_add_f64_e64 v[16:17], v[8:9], -v[58:59]
	v_add_f64_e64 v[18:19], v[10:11], -v[64:65]
	s_delay_alu instid0(VALU_DEP_2) | instskip(NEXT) | instid1(VALU_DEP_2)
	;; [unrolled: 13-line block ×3, first 2 shown]
	v_add_f64_e64 v[16:17], v[72:73], -v[76:77]
	v_add_f64_e32 v[18:19], v[74:75], v[78:79]
	v_fma_f64 v[64:65], v[12:13], 2.0, -v[72:73]
	v_fma_f64 v[66:67], v[14:15], 2.0, -v[74:75]
	s_delay_alu instid0(VALU_DEP_4) | instskip(NEXT) | instid1(VALU_DEP_4)
	v_fma_f64 v[12:13], v[72:73], 2.0, -v[16:17]
	v_fma_f64 v[14:15], v[74:75], 2.0, -v[18:19]
	ds_store_b128 v92, v[16:19] offset:48384
	ds_load_b128 v[16:19], v92 offset:9216
	s_wait_dscnt 0x0
	v_add_f64_e64 v[97:98], v[16:17], -v[80:81]
	v_add_f64_e64 v[99:100], v[18:19], -v[82:83]
	;; [unrolled: 1-line block ×4, first 2 shown]
	s_delay_alu instid0(VALU_DEP_4) | instskip(NEXT) | instid1(VALU_DEP_4)
	v_fma_f64 v[72:73], v[16:17], 2.0, -v[97:98]
	v_fma_f64 v[74:75], v[18:19], 2.0, -v[99:100]
	s_delay_alu instid0(VALU_DEP_4) | instskip(NEXT) | instid1(VALU_DEP_4)
	v_add_f64_e64 v[93:94], v[97:98], -v[80:81]
	v_add_f64_e32 v[95:96], v[99:100], v[82:83]
	s_delay_alu instid0(VALU_DEP_2) | instskip(NEXT) | instid1(VALU_DEP_2)
	v_fma_f64 v[16:17], v[97:98], 2.0, -v[93:94]
	v_fma_f64 v[18:19], v[99:100], 2.0, -v[95:96]
	ds_store_b128 v92, v[93:96] offset:50688
	ds_load_b128 v[93:96], v92 offset:11520
	s_wait_dscnt 0x0
	v_add_f64_e64 v[97:98], v[93:94], -v[84:85]
	v_add_f64_e64 v[99:100], v[95:96], -v[86:87]
	s_delay_alu instid0(VALU_DEP_2) | instskip(NEXT) | instid1(VALU_DEP_2)
	v_add_f64_e64 v[84:85], v[97:98], -v[24:25]
	v_add_f64_e32 v[86:87], v[99:100], v[163:164]
	ds_store_b128 v92, v[84:87] offset:52992
	ds_store_b128 v92, v[0:3] offset:13824
	v_fma_f64 v[0:1], v[20:21], 2.0, -v[54:55]
	v_fma_f64 v[2:3], v[22:23], 2.0, -v[52:53]
	v_fma_f64 v[88:89], v[97:98], 2.0, -v[84:85]
	v_fma_f64 v[90:91], v[99:100], 2.0, -v[86:87]
	v_fma_f64 v[93:94], v[93:94], 2.0, -v[97:98]
	v_fma_f64 v[95:96], v[95:96], 2.0, -v[99:100]
	v_add_f64_e64 v[0:1], v[44:45], -v[0:1]
	v_add_f64_e64 v[2:3], v[46:47], -v[2:3]
	ds_store_b128 v92, v[0:3] offset:27648
	ds_store_b128 v92, v[4:7] offset:16128
	v_fma_f64 v[20:21], v[44:45], 2.0, -v[0:1]
	v_fma_f64 v[22:23], v[46:47], 2.0, -v[2:3]
	v_fma_f64 v[0:1], v[101:102], 2.0, -v[62:63]
	v_fma_f64 v[2:3], v[26:27], 2.0, -v[60:61]
	s_delay_alu instid0(VALU_DEP_2) | instskip(NEXT) | instid1(VALU_DEP_2)
	v_add_f64_e64 v[0:1], v[48:49], -v[0:1]
	v_add_f64_e64 v[2:3], v[50:51], -v[2:3]
	ds_store_b128 v92, v[0:3] offset:29952
	ds_store_b128 v92, v[8:11] offset:18432
	v_fma_f64 v[4:5], v[48:49], 2.0, -v[0:1]
	v_fma_f64 v[6:7], v[50:51], 2.0, -v[2:3]
	v_fma_f64 v[0:1], v[28:29], 2.0, -v[70:71]
	v_fma_f64 v[2:3], v[30:31], 2.0, -v[68:69]
	s_delay_alu instid0(VALU_DEP_2) | instskip(NEXT) | instid1(VALU_DEP_2)
	;; [unrolled: 9-line block ×5, first 2 shown]
	v_add_f64_e64 v[0:1], v[93:94], -v[0:1]
	v_add_f64_e64 v[2:3], v[95:96], -v[2:3]
	s_delay_alu instid0(VALU_DEP_2) | instskip(NEXT) | instid1(VALU_DEP_2)
	v_fma_f64 v[24:25], v[93:94], 2.0, -v[0:1]
	v_fma_f64 v[26:27], v[95:96], 2.0, -v[2:3]
	ds_store_b128 v92, v[0:3] offset:39168
	ds_store_b128 v92, v[20:23]
	ds_store_b128 v92, v[4:7] offset:2304
	ds_store_b128 v92, v[8:11] offset:4608
	;; [unrolled: 1-line block ×5, first 2 shown]
	global_wb scope:SCOPE_SE
	s_wait_dscnt 0x0
	s_barrier_signal -1
	s_barrier_wait -1
	global_inv scope:SCOPE_SE
	global_load_b128 v[0:3], v92, s[8:9] offset:55296
	ds_load_b128 v[4:7], v92
	s_add_nc_u64 s[8:9], s[8:9], 0xd800
	global_load_b128 v[93:96], v92, s[8:9] offset:43776
	s_wait_loadcnt_dscnt 0x100
	v_mul_f64_e32 v[8:9], v[6:7], v[2:3]
	v_mul_f64_e32 v[2:3], v[4:5], v[2:3]
	s_delay_alu instid0(VALU_DEP_2) | instskip(NEXT) | instid1(VALU_DEP_2)
	v_fma_f64 v[97:98], v[4:5], v[0:1], -v[8:9]
	v_fma_f64 v[99:100], v[6:7], v[0:1], v[2:3]
	global_load_b128 v[0:3], v92, s[8:9] offset:9216
	ds_load_b128 v[4:7], v92 offset:9216
	s_wait_loadcnt_dscnt 0x0
	v_mul_f64_e32 v[8:9], v[6:7], v[2:3]
	v_mul_f64_e32 v[2:3], v[4:5], v[2:3]
	s_delay_alu instid0(VALU_DEP_2) | instskip(NEXT) | instid1(VALU_DEP_2)
	v_fma_f64 v[88:89], v[4:5], v[0:1], -v[8:9]
	v_fma_f64 v[90:91], v[6:7], v[0:1], v[2:3]
	global_load_b128 v[0:3], v92, s[8:9] offset:18432
	ds_load_b128 v[4:7], v92 offset:18432
	;; [unrolled: 8-line block ×21, first 2 shown]
	s_wait_loadcnt_dscnt 0x0
	v_mul_f64_e32 v[8:9], v[6:7], v[2:3]
	v_mul_f64_e32 v[2:3], v[4:5], v[2:3]
	s_delay_alu instid0(VALU_DEP_2) | instskip(NEXT) | instid1(VALU_DEP_2)
	v_fma_f64 v[8:9], v[4:5], v[0:1], -v[8:9]
	v_fma_f64 v[10:11], v[6:7], v[0:1], v[2:3]
	ds_load_b128 v[0:3], v92 offset:43776
	s_wait_dscnt 0x0
	v_mul_f64_e32 v[4:5], v[2:3], v[95:96]
	v_mul_f64_e32 v[6:7], v[0:1], v[95:96]
	s_delay_alu instid0(VALU_DEP_2) | instskip(NEXT) | instid1(VALU_DEP_2)
	v_fma_f64 v[4:5], v[0:1], v[93:94], -v[4:5]
	v_fma_f64 v[6:7], v[2:3], v[93:94], v[6:7]
	global_load_b128 v[93:96], v92, s[8:9] offset:52992
	ds_load_b128 v[0:3], v92 offset:52992
	s_wait_loadcnt_dscnt 0x0
	v_mul_f64_e32 v[101:102], v[2:3], v[95:96]
	v_mul_f64_e32 v[95:96], v[0:1], v[95:96]
	s_delay_alu instid0(VALU_DEP_2) | instskip(NEXT) | instid1(VALU_DEP_2)
	v_fma_f64 v[0:1], v[0:1], v[93:94], -v[101:102]
	v_fma_f64 v[2:3], v[2:3], v[93:94], v[95:96]
	ds_store_b128 v92, v[97:100]
	ds_store_b128 v92, v[88:91] offset:9216
	ds_store_b128 v92, v[84:87] offset:18432
	;; [unrolled: 1-line block ×23, first 2 shown]
	global_wb scope:SCOPE_SE
	s_wait_dscnt 0x0
	s_barrier_signal -1
	s_barrier_wait -1
	global_inv scope:SCOPE_SE
	ds_load_b128 v[0:3], v92
	ds_load_b128 v[4:7], v92 offset:18432
	ds_load_b128 v[8:11], v92 offset:36864
	s_wait_dscnt 0x1
	v_add_f64_e32 v[12:13], v[0:1], v[4:5]
	v_add_f64_e32 v[14:15], v[2:3], v[6:7]
	s_wait_dscnt 0x0
	v_add_f64_e32 v[16:17], v[4:5], v[8:9]
	v_add_f64_e64 v[18:19], v[6:7], -v[10:11]
	v_add_f64_e32 v[20:21], v[6:7], v[10:11]
	v_add_f64_e64 v[22:23], v[4:5], -v[8:9]
	v_add_f64_e32 v[24:25], v[12:13], v[8:9]
	v_add_f64_e32 v[26:27], v[14:15], v[10:11]
	ds_load_b128 v[4:7], v92 offset:9216
	ds_load_b128 v[8:11], v92 offset:27648
	;; [unrolled: 1-line block ×3, first 2 shown]
	v_fma_f64 v[0:1], v[16:17], -0.5, v[0:1]
	v_fma_f64 v[2:3], v[20:21], -0.5, v[2:3]
	s_wait_dscnt 0x1
	v_add_f64_e32 v[28:29], v[4:5], v[8:9]
	s_wait_dscnt 0x0
	v_add_f64_e32 v[32:33], v[10:11], v[14:15]
	v_add_f64_e32 v[30:31], v[6:7], v[10:11]
	;; [unrolled: 1-line block ×3, first 2 shown]
	v_add_f64_e64 v[8:9], v[8:9], -v[12:13]
	v_add_f64_e64 v[10:11], v[10:11], -v[14:15]
	v_fma_f64 v[20:21], v[22:23], s[12:13], v[2:3]
	v_fma_f64 v[2:3], v[22:23], s[14:15], v[2:3]
	v_add_f64_e32 v[12:13], v[28:29], v[12:13]
	v_fma_f64 v[6:7], v[32:33], -0.5, v[6:7]
	v_add_f64_e32 v[14:15], v[30:31], v[14:15]
	v_fma_f64 v[4:5], v[34:35], -0.5, v[4:5]
	s_delay_alu instid0(VALU_DEP_4)
	v_add_f64_e32 v[68:69], v[24:25], v[12:13]
	v_add_f64_e64 v[93:94], v[24:25], -v[12:13]
	v_fma_f64 v[12:13], v[8:9], s[12:13], v[6:7]
	v_fma_f64 v[6:7], v[8:9], s[14:15], v[6:7]
	v_add_f64_e32 v[70:71], v[26:27], v[14:15]
	v_add_f64_e64 v[95:96], v[26:27], -v[14:15]
	v_fma_f64 v[16:17], v[10:11], s[14:15], v[4:5]
	v_fma_f64 v[4:5], v[10:11], s[12:13], v[4:5]
	v_mul_f64_e32 v[14:15], s[14:15], v[12:13]
	v_mul_f64_e32 v[12:13], 0.5, v[12:13]
	v_mul_f64_e32 v[8:9], s[14:15], v[6:7]
	v_mul_f64_e32 v[6:7], -0.5, v[6:7]
	s_delay_alu instid0(VALU_DEP_4) | instskip(NEXT) | instid1(VALU_DEP_4)
	v_fma_f64 v[14:15], v[16:17], 0.5, v[14:15]
	v_fma_f64 v[12:13], v[16:17], s[12:13], v[12:13]
	v_fma_f64 v[16:17], v[18:19], s[14:15], v[0:1]
	;; [unrolled: 1-line block ×3, first 2 shown]
	v_fma_f64 v[8:9], v[4:5], -0.5, v[8:9]
	v_fma_f64 v[4:5], v[4:5], s[12:13], v[6:7]
	v_add_f64_e32 v[62:63], v[20:21], v[12:13]
	v_add_f64_e32 v[60:61], v[16:17], v[14:15]
	v_add_f64_e64 v[48:49], v[16:17], -v[14:15]
	v_add_f64_e32 v[72:73], v[0:1], v[8:9]
	v_add_f64_e32 v[74:75], v[2:3], v[4:5]
	v_add_f64_e64 v[50:51], v[20:21], -v[12:13]
	v_add_f64_e64 v[64:65], v[0:1], -v[8:9]
	;; [unrolled: 1-line block ×3, first 2 shown]
	ds_load_b128 v[32:35], v92 offset:2304
	ds_load_b128 v[28:31], v92 offset:11520
	;; [unrolled: 1-line block ×18, first 2 shown]
	global_wb scope:SCOPE_SE
	s_wait_dscnt 0x0
	s_barrier_signal -1
	s_barrier_wait -1
	global_inv scope:SCOPE_SE
	ds_store_b128 v165, v[68:71]
	ds_store_b128 v165, v[93:96] offset:48
	ds_store_b128 v165, v[60:63] offset:16
	ds_store_b128 v165, v[72:75] offset:32
	ds_store_b128 v165, v[48:51] offset:64
	ds_store_b128 v165, v[64:67] offset:80
	v_add_f64_e32 v[48:49], v[32:33], v[52:53]
	v_add_f64_e32 v[50:51], v[34:35], v[54:55]
	;; [unrolled: 1-line block ×3, first 2 shown]
	v_add_f64_e64 v[62:63], v[54:55], -v[58:59]
	v_add_f64_e32 v[54:55], v[54:55], v[58:59]
	v_add_f64_e64 v[52:53], v[52:53], -v[56:57]
	v_add_f64_e32 v[64:65], v[42:43], v[46:47]
	v_add_f64_e32 v[66:67], v[40:41], v[44:45]
	v_add_f64_e64 v[68:69], v[42:43], -v[46:47]
	v_add_f64_e64 v[70:71], v[40:41], -v[44:45]
	v_add_f64_e32 v[48:49], v[48:49], v[56:57]
	v_add_f64_e32 v[50:51], v[50:51], v[58:59]
	;; [unrolled: 1-line block ×4, first 2 shown]
	v_fma_f64 v[54:55], v[54:55], -0.5, v[34:35]
	s_delay_alu instid0(VALU_DEP_3) | instskip(NEXT) | instid1(VALU_DEP_3)
	v_add_f64_e32 v[40:41], v[56:57], v[44:45]
	v_add_f64_e32 v[42:43], v[58:59], v[46:47]
	v_fma_f64 v[58:59], v[64:65], -0.5, v[30:31]
	v_fma_f64 v[56:57], v[60:61], -0.5, v[32:33]
	;; [unrolled: 1-line block ×3, first 2 shown]
	v_add_f64_e32 v[28:29], v[48:49], v[40:41]
	v_add_f64_e64 v[32:33], v[48:49], -v[40:41]
	v_fma_f64 v[40:41], v[70:71], s[12:13], v[58:59]
	v_add_f64_e32 v[30:31], v[50:51], v[42:43]
	v_add_f64_e64 v[34:35], v[50:51], -v[42:43]
	v_fma_f64 v[44:45], v[68:69], s[14:15], v[60:61]
	v_fma_f64 v[50:51], v[52:53], s[12:13], v[54:55]
	;; [unrolled: 1-line block ×3, first 2 shown]
	v_mul_f64_e32 v[42:43], s[14:15], v[40:41]
	v_mul_f64_e32 v[40:41], 0.5, v[40:41]
	s_delay_alu instid0(VALU_DEP_2) | instskip(NEXT) | instid1(VALU_DEP_2)
	v_fma_f64 v[46:47], v[44:45], 0.5, v[42:43]
	v_fma_f64 v[48:49], v[44:45], s[12:13], v[40:41]
	v_fma_f64 v[44:45], v[62:63], s[14:15], v[56:57]
	;; [unrolled: 1-line block ×3, first 2 shown]
	s_delay_alu instid0(VALU_DEP_3) | instskip(NEXT) | instid1(VALU_DEP_3)
	v_add_f64_e32 v[42:43], v[50:51], v[48:49]
	v_add_f64_e32 v[40:41], v[44:45], v[46:47]
	v_add_f64_e64 v[44:45], v[44:45], -v[46:47]
	v_add_f64_e64 v[46:47], v[50:51], -v[48:49]
	v_fma_f64 v[48:49], v[70:71], s[14:15], v[58:59]
	v_fma_f64 v[50:51], v[68:69], s[12:13], v[60:61]
	s_delay_alu instid0(VALU_DEP_2) | instskip(SKIP_1) | instid1(VALU_DEP_2)
	v_mul_f64_e32 v[52:53], s[14:15], v[48:49]
	v_mul_f64_e32 v[48:49], -0.5, v[48:49]
	v_fma_f64 v[52:53], v[50:51], -0.5, v[52:53]
	s_delay_alu instid0(VALU_DEP_2) | instskip(NEXT) | instid1(VALU_DEP_2)
	v_fma_f64 v[58:59], v[50:51], s[12:13], v[48:49]
	v_add_f64_e32 v[48:49], v[56:57], v[52:53]
	s_delay_alu instid0(VALU_DEP_2)
	v_add_f64_e32 v[50:51], v[54:55], v[58:59]
	v_add_f64_e64 v[52:53], v[56:57], -v[52:53]
	v_add_f64_e64 v[54:55], v[54:55], -v[58:59]
	ds_store_b128 v166, v[28:31]
	ds_store_b128 v166, v[40:43] offset:16
	ds_store_b128 v166, v[48:51] offset:32
	ds_store_b128 v166, v[32:35] offset:48
	ds_store_b128 v166, v[44:47] offset:64
	ds_store_b128 v166, v[52:55] offset:80
	v_add_f64_e32 v[28:29], v[8:9], v[20:21]
	v_add_f64_e32 v[30:31], v[10:11], v[22:23]
	;; [unrolled: 1-line block ×3, first 2 shown]
	v_add_f64_e64 v[34:35], v[22:23], -v[26:27]
	v_add_f64_e32 v[22:23], v[22:23], v[26:27]
	v_add_f64_e64 v[20:21], v[20:21], -v[24:25]
	v_add_f64_e32 v[40:41], v[14:15], v[18:19]
	v_add_f64_e32 v[42:43], v[12:13], v[16:17]
	v_add_f64_e64 v[44:45], v[14:15], -v[18:19]
	v_add_f64_e64 v[46:47], v[12:13], -v[16:17]
	v_add_f64_e32 v[24:25], v[28:29], v[24:25]
	v_add_f64_e32 v[26:27], v[30:31], v[26:27]
	;; [unrolled: 1-line block ×4, first 2 shown]
	v_fma_f64 v[22:23], v[22:23], -0.5, v[10:11]
	s_delay_alu instid0(VALU_DEP_3) | instskip(NEXT) | instid1(VALU_DEP_3)
	v_add_f64_e32 v[12:13], v[28:29], v[16:17]
	v_add_f64_e32 v[14:15], v[30:31], v[18:19]
	v_fma_f64 v[30:31], v[40:41], -0.5, v[6:7]
	v_fma_f64 v[28:29], v[32:33], -0.5, v[8:9]
	;; [unrolled: 1-line block ×3, first 2 shown]
	v_add_f64_e32 v[4:5], v[24:25], v[12:13]
	v_add_f64_e64 v[8:9], v[24:25], -v[12:13]
	v_fma_f64 v[12:13], v[46:47], s[12:13], v[30:31]
	v_add_f64_e32 v[6:7], v[26:27], v[14:15]
	v_add_f64_e64 v[10:11], v[26:27], -v[14:15]
	v_fma_f64 v[16:17], v[44:45], s[14:15], v[32:33]
	v_fma_f64 v[26:27], v[20:21], s[12:13], v[22:23]
	v_mul_f64_e32 v[14:15], s[14:15], v[12:13]
	v_mul_f64_e32 v[12:13], 0.5, v[12:13]
	s_delay_alu instid0(VALU_DEP_2) | instskip(NEXT) | instid1(VALU_DEP_2)
	v_fma_f64 v[18:19], v[16:17], 0.5, v[14:15]
	v_fma_f64 v[24:25], v[16:17], s[12:13], v[12:13]
	v_fma_f64 v[16:17], v[34:35], s[14:15], v[28:29]
	s_delay_alu instid0(VALU_DEP_2) | instskip(NEXT) | instid1(VALU_DEP_2)
	v_add_f64_e32 v[14:15], v[26:27], v[24:25]
	v_add_f64_e32 v[12:13], v[16:17], v[18:19]
	v_add_f64_e64 v[16:17], v[16:17], -v[18:19]
	v_add_f64_e64 v[18:19], v[26:27], -v[24:25]
	v_fma_f64 v[24:25], v[46:47], s[14:15], v[30:31]
	v_fma_f64 v[26:27], v[34:35], s[12:13], v[28:29]
	;; [unrolled: 1-line block ×4, first 2 shown]
	s_delay_alu instid0(VALU_DEP_4) | instskip(SKIP_1) | instid1(VALU_DEP_2)
	v_mul_f64_e32 v[22:23], s[14:15], v[24:25]
	v_mul_f64_e32 v[24:25], -0.5, v[24:25]
	v_fma_f64 v[30:31], v[20:21], -0.5, v[22:23]
	s_delay_alu instid0(VALU_DEP_2) | instskip(NEXT) | instid1(VALU_DEP_2)
	v_fma_f64 v[32:33], v[20:21], s[12:13], v[24:25]
	v_add_f64_e32 v[20:21], v[26:27], v[30:31]
	s_delay_alu instid0(VALU_DEP_2)
	v_add_f64_e32 v[22:23], v[28:29], v[32:33]
	v_add_f64_e64 v[24:25], v[26:27], -v[30:31]
	v_add_f64_e64 v[26:27], v[28:29], -v[32:33]
	scratch_load_b32 v28, off, off offset:404 th:TH_LOAD_LU ; 4-byte Folded Reload
	s_wait_loadcnt 0x0
	ds_store_b128 v28, v[4:7]
	ds_store_b128 v28, v[12:15] offset:16
	ds_store_b128 v28, v[20:23] offset:32
	;; [unrolled: 1-line block ×5, first 2 shown]
	v_add_f64_e32 v[12:13], v[82:83], v[86:87]
	v_add_f64_e32 v[4:5], v[36:37], v[88:89]
	;; [unrolled: 1-line block ×5, first 2 shown]
	v_add_f64_e64 v[22:23], v[80:81], -v[84:85]
	v_add_f64_e64 v[16:17], v[90:91], -v[2:3]
	v_add_f64_e32 v[10:11], v[90:91], v[2:3]
	v_add_f64_e64 v[18:19], v[88:89], -v[0:1]
	v_add_f64_e64 v[20:21], v[82:83], -v[86:87]
	v_fma_f64 v[32:33], v[12:13], -0.5, v[78:79]
	v_add_f64_e32 v[4:5], v[4:5], v[0:1]
	v_add_f64_e32 v[6:7], v[6:7], v[2:3]
	;; [unrolled: 1-line block ×4, first 2 shown]
	v_fma_f64 v[28:29], v[8:9], -0.5, v[36:37]
	v_fma_f64 v[34:35], v[14:15], -0.5, v[76:77]
	;; [unrolled: 1-line block ×3, first 2 shown]
	v_fma_f64 v[8:9], v[22:23], s[12:13], v[32:33]
	v_fma_f64 v[22:23], v[22:23], s[14:15], v[32:33]
	v_add_f64_e32 v[24:25], v[0:1], v[84:85]
	v_add_f64_e32 v[26:27], v[2:3], v[86:87]
	v_fma_f64 v[12:13], v[20:21], s[14:15], v[34:35]
	v_mul_f64_e32 v[10:11], s[14:15], v[8:9]
	v_mul_f64_e32 v[8:9], 0.5, v[8:9]
	v_add_f64_e32 v[0:1], v[4:5], v[24:25]
	v_add_f64_e32 v[2:3], v[6:7], v[26:27]
	v_add_f64_e64 v[4:5], v[4:5], -v[24:25]
	v_add_f64_e64 v[6:7], v[6:7], -v[26:27]
	v_fma_f64 v[26:27], v[18:19], s[12:13], v[30:31]
	v_fma_f64 v[14:15], v[12:13], 0.5, v[10:11]
	v_fma_f64 v[24:25], v[12:13], s[12:13], v[8:9]
	v_fma_f64 v[12:13], v[16:17], s[14:15], v[28:29]
	s_delay_alu instid0(VALU_DEP_2) | instskip(NEXT) | instid1(VALU_DEP_2)
	v_add_f64_e32 v[10:11], v[26:27], v[24:25]
	v_add_f64_e32 v[8:9], v[12:13], v[14:15]
	v_add_f64_e64 v[12:13], v[12:13], -v[14:15]
	v_add_f64_e64 v[14:15], v[26:27], -v[24:25]
	v_fma_f64 v[24:25], v[16:17], s[12:13], v[28:29]
	v_fma_f64 v[26:27], v[18:19], s[14:15], v[30:31]
	;; [unrolled: 1-line block ×3, first 2 shown]
	v_mul_f64_e32 v[18:19], s[14:15], v[22:23]
	v_mul_f64_e32 v[20:21], -0.5, v[22:23]
	s_delay_alu instid0(VALU_DEP_2) | instskip(NEXT) | instid1(VALU_DEP_2)
	v_fma_f64 v[22:23], v[16:17], -0.5, v[18:19]
	v_fma_f64 v[28:29], v[16:17], s[12:13], v[20:21]
	s_delay_alu instid0(VALU_DEP_2)
	v_add_f64_e32 v[16:17], v[24:25], v[22:23]
	v_add_f64_e64 v[20:21], v[24:25], -v[22:23]
	scratch_load_b32 v24, off, off offset:400 th:TH_LOAD_LU ; 4-byte Folded Reload
	v_add_f64_e32 v[18:19], v[26:27], v[28:29]
	v_add_f64_e64 v[22:23], v[26:27], -v[28:29]
	s_wait_loadcnt 0x0
	ds_store_b128 v24, v[0:3]
	ds_store_b128 v24, v[8:11] offset:16
	ds_store_b128 v24, v[16:19] offset:32
	ds_store_b128 v24, v[4:7] offset:48
	ds_store_b128 v24, v[12:15] offset:64
	ds_store_b128 v24, v[20:23] offset:80
	global_wb scope:SCOPE_SE
	s_wait_dscnt 0x0
	s_barrier_signal -1
	s_barrier_wait -1
	global_inv scope:SCOPE_SE
	s_clause 0x1
	scratch_load_b128 v[10:13], off, off offset:408 th:TH_LOAD_LU
	scratch_load_b128 v[14:17], off, off offset:424 th:TH_LOAD_LU
	ds_load_b128 v[0:3], v92 offset:9216
	s_wait_loadcnt_dscnt 0x100
	v_mul_f64_e32 v[4:5], v[12:13], v[2:3]
	s_delay_alu instid0(VALU_DEP_1) | instskip(SKIP_1) | instid1(VALU_DEP_1)
	v_fma_f64 v[8:9], v[10:11], v[0:1], v[4:5]
	v_mul_f64_e32 v[0:1], v[12:13], v[0:1]
	v_fma_f64 v[10:11], v[10:11], v[2:3], -v[0:1]
	ds_load_b128 v[0:3], v92 offset:18432
	s_wait_loadcnt_dscnt 0x0
	v_mul_f64_e32 v[4:5], v[16:17], v[2:3]
	s_delay_alu instid0(VALU_DEP_1)
	v_fma_f64 v[12:13], v[14:15], v[0:1], v[4:5]
	v_mul_f64_e32 v[0:1], v[16:17], v[0:1]
	scratch_load_b128 v[16:19], off, off offset:440 th:TH_LOAD_LU ; 16-byte Folded Reload
	v_fma_f64 v[14:15], v[14:15], v[2:3], -v[0:1]
	ds_load_b128 v[0:3], v92 offset:27648
	s_wait_loadcnt_dscnt 0x0
	v_mul_f64_e32 v[4:5], v[18:19], v[2:3]
	s_delay_alu instid0(VALU_DEP_1) | instskip(SKIP_1) | instid1(VALU_DEP_1)
	v_fma_f64 v[20:21], v[16:17], v[0:1], v[4:5]
	v_mul_f64_e32 v[0:1], v[18:19], v[0:1]
	v_fma_f64 v[22:23], v[16:17], v[2:3], -v[0:1]
	scratch_load_b128 v[16:19], off, off offset:456 th:TH_LOAD_LU ; 16-byte Folded Reload
	ds_load_b128 v[0:3], v92 offset:36864
	v_add_f64_e32 v[6:7], v[10:11], v[22:23]
	s_wait_loadcnt_dscnt 0x0
	v_mul_f64_e32 v[4:5], v[18:19], v[2:3]
	s_delay_alu instid0(VALU_DEP_1) | instskip(SKIP_1) | instid1(VALU_DEP_1)
	v_fma_f64 v[24:25], v[16:17], v[0:1], v[4:5]
	v_mul_f64_e32 v[0:1], v[18:19], v[0:1]
	v_fma_f64 v[26:27], v[16:17], v[2:3], -v[0:1]
	scratch_load_b128 v[16:19], off, off offset:472 th:TH_LOAD_LU ; 16-byte Folded Reload
	ds_load_b128 v[0:3], v92 offset:46080
	s_wait_loadcnt_dscnt 0x0
	v_mul_f64_e32 v[4:5], v[18:19], v[2:3]
	s_delay_alu instid0(VALU_DEP_1) | instskip(SKIP_1) | instid1(VALU_DEP_1)
	v_fma_f64 v[28:29], v[16:17], v[0:1], v[4:5]
	v_mul_f64_e32 v[0:1], v[18:19], v[0:1]
	v_fma_f64 v[30:31], v[16:17], v[2:3], -v[0:1]
	scratch_load_b128 v[16:19], off, off offset:488 th:TH_LOAD_LU ; 16-byte Folded Reload
	ds_load_b128 v[0:3], v92 offset:11520
	v_add_f64_e32 v[6:7], v[6:7], v[30:31]
	s_wait_loadcnt_dscnt 0x0
	v_mul_f64_e32 v[4:5], v[18:19], v[2:3]
	s_delay_alu instid0(VALU_DEP_1) | instskip(SKIP_1) | instid1(VALU_DEP_1)
	v_fma_f64 v[76:77], v[16:17], v[0:1], v[4:5]
	v_mul_f64_e32 v[0:1], v[18:19], v[0:1]
	v_fma_f64 v[78:79], v[16:17], v[2:3], -v[0:1]
	scratch_load_b128 v[16:19], off, off offset:504 th:TH_LOAD_LU ; 16-byte Folded Reload
	ds_load_b128 v[0:3], v92 offset:20736
	s_wait_loadcnt_dscnt 0x0
	v_mul_f64_e32 v[4:5], v[18:19], v[2:3]
	s_delay_alu instid0(VALU_DEP_1) | instskip(SKIP_1) | instid1(VALU_DEP_1)
	v_fma_f64 v[80:81], v[16:17], v[0:1], v[4:5]
	v_mul_f64_e32 v[0:1], v[18:19], v[0:1]
	v_fma_f64 v[82:83], v[16:17], v[2:3], -v[0:1]
	scratch_load_b128 v[16:19], off, off offset:520 th:TH_LOAD_LU ; 16-byte Folded Reload
	ds_load_b128 v[0:3], v92 offset:29952
	;; [unrolled: 8-line block ×14, first 2 shown]
	s_wait_loadcnt_dscnt 0x0
	v_mul_f64_e32 v[4:5], v[18:19], v[2:3]
	s_delay_alu instid0(VALU_DEP_1) | instskip(SKIP_2) | instid1(VALU_DEP_2)
	v_fma_f64 v[54:55], v[16:17], v[0:1], v[4:5]
	v_mul_f64_e32 v[0:1], v[18:19], v[0:1]
	v_add_f64_e32 v[4:5], v[12:13], v[24:25]
	v_fma_f64 v[52:53], v[16:17], v[2:3], -v[0:1]
	ds_load_b128 v[0:3], v92
	s_wait_dscnt 0x0
	v_fma_f64 v[32:33], v[4:5], -0.5, v[0:1]
	v_add_f64_e32 v[4:5], v[14:15], v[26:27]
	v_add_f64_e32 v[0:1], v[0:1], v[12:13]
	v_add_f64_e64 v[12:13], v[12:13], -v[24:25]
	s_delay_alu instid0(VALU_DEP_3)
	v_fma_f64 v[34:35], v[4:5], -0.5, v[2:3]
	v_add_f64_e32 v[2:3], v[2:3], v[14:15]
	v_add_f64_e32 v[4:5], v[8:9], v[20:21]
	;; [unrolled: 1-line block ×3, first 2 shown]
	v_add_f64_e64 v[24:25], v[22:23], -v[30:31]
	v_add_f64_e64 v[14:15], v[14:15], -v[26:27]
	v_add_f64_e32 v[2:3], v[2:3], v[26:27]
	v_add_f64_e32 v[4:5], v[4:5], v[28:29]
	s_delay_alu instid0(VALU_DEP_2) | instskip(NEXT) | instid1(VALU_DEP_2)
	v_add_f64_e32 v[18:19], v[2:3], v[6:7]
	v_add_f64_e32 v[16:17], v[0:1], v[4:5]
	v_add_f64_e64 v[4:5], v[0:1], -v[4:5]
	v_add_f64_e64 v[6:7], v[2:3], -v[6:7]
	v_add_f64_e32 v[0:1], v[20:21], v[28:29]
	v_add_f64_e64 v[2:3], v[20:21], -v[28:29]
	v_add_f64_e32 v[20:21], v[22:23], v[30:31]
	v_fma_f64 v[30:31], v[12:13], s[12:13], v[34:35]
	v_fma_f64 v[12:13], v[12:13], s[14:15], v[34:35]
	v_fma_f64 v[0:1], v[0:1], -0.5, v[8:9]
	s_delay_alu instid0(VALU_DEP_4) | instskip(NEXT) | instid1(VALU_DEP_2)
	v_fma_f64 v[28:29], v[20:21], -0.5, v[10:11]
	v_fma_f64 v[20:21], v[24:25], s[14:15], v[0:1]
	v_fma_f64 v[0:1], v[24:25], s[12:13], v[0:1]
	s_delay_alu instid0(VALU_DEP_3) | instskip(SKIP_1) | instid1(VALU_DEP_2)
	v_fma_f64 v[8:9], v[2:3], s[12:13], v[28:29]
	v_fma_f64 v[2:3], v[2:3], s[14:15], v[28:29]
	v_mul_f64_e32 v[10:11], s[14:15], v[8:9]
	v_mul_f64_e32 v[8:9], 0.5, v[8:9]
	s_delay_alu instid0(VALU_DEP_3) | instskip(SKIP_1) | instid1(VALU_DEP_4)
	v_mul_f64_e32 v[24:25], s[14:15], v[2:3]
	v_mul_f64_e32 v[2:3], -0.5, v[2:3]
	v_fma_f64 v[10:11], v[20:21], 0.5, v[10:11]
	s_delay_alu instid0(VALU_DEP_4)
	v_fma_f64 v[26:27], v[20:21], s[12:13], v[8:9]
	v_fma_f64 v[8:9], v[14:15], s[14:15], v[32:33]
	;; [unrolled: 1-line block ×3, first 2 shown]
	v_fma_f64 v[24:25], v[0:1], -0.5, v[24:25]
	v_fma_f64 v[0:1], v[0:1], s[12:13], v[2:3]
	v_add_f64_e32 v[22:23], v[30:31], v[26:27]
	v_add_f64_e32 v[20:21], v[8:9], v[10:11]
	v_add_f64_e64 v[8:9], v[8:9], -v[10:11]
	v_add_f64_e64 v[10:11], v[30:31], -v[26:27]
	v_add_f64_e32 v[28:29], v[14:15], v[24:25]
	v_add_f64_e32 v[30:31], v[12:13], v[0:1]
	v_add_f64_e64 v[24:25], v[14:15], -v[24:25]
	v_add_f64_e64 v[26:27], v[12:13], -v[0:1]
	ds_load_b128 v[12:15], v92 offset:2304
	ds_load_b128 v[0:3], v92 offset:4608
	;; [unrolled: 1-line block ×3, first 2 shown]
	global_wb scope:SCOPE_SE
	s_wait_dscnt 0x0
	s_barrier_signal -1
	s_barrier_wait -1
	global_inv scope:SCOPE_SE
	scratch_load_b32 v93, off, off offset:756 th:TH_LOAD_LU ; 4-byte Folded Reload
	s_wait_loadcnt 0x0
	ds_store_b128 v93, v[16:19]
	ds_store_b128 v93, v[4:7] offset:288
	ds_store_b128 v93, v[20:23] offset:96
	;; [unrolled: 1-line block ×5, first 2 shown]
	v_add_f64_e32 v[4:5], v[80:81], v[88:89]
	v_add_f64_e32 v[6:7], v[14:15], v[82:83]
	v_add_f64_e64 v[24:25], v[86:87], -v[94:95]
	v_add_f64_e64 v[28:29], v[82:83], -v[90:91]
	;; [unrolled: 1-line block ×3, first 2 shown]
	v_fma_f64 v[20:21], v[4:5], -0.5, v[12:13]
	v_add_f64_e32 v[4:5], v[82:83], v[90:91]
	v_add_f64_e32 v[10:11], v[6:7], v[90:91]
	s_delay_alu instid0(VALU_DEP_2) | instskip(SKIP_1) | instid1(VALU_DEP_2)
	v_fma_f64 v[22:23], v[4:5], -0.5, v[14:15]
	v_add_f64_e32 v[4:5], v[12:13], v[80:81]
	v_fma_f64 v[82:83], v[30:31], s[12:13], v[22:23]
	s_delay_alu instid0(VALU_DEP_2) | instskip(SKIP_1) | instid1(VALU_DEP_1)
	v_add_f64_e32 v[8:9], v[4:5], v[88:89]
	v_add_f64_e32 v[4:5], v[76:77], v[86:87]
	;; [unrolled: 1-line block ×4, first 2 shown]
	s_delay_alu instid0(VALU_DEP_1) | instskip(NEXT) | instid1(VALU_DEP_3)
	v_add_f64_e32 v[14:15], v[4:5], v[165:166]
	v_add_f64_e32 v[4:5], v[8:9], v[12:13]
	v_add_f64_e64 v[8:9], v[8:9], -v[12:13]
	v_add_f64_e32 v[12:13], v[86:87], v[94:95]
	s_delay_alu instid0(VALU_DEP_4) | instskip(SKIP_2) | instid1(VALU_DEP_4)
	v_add_f64_e32 v[6:7], v[10:11], v[14:15]
	v_add_f64_e64 v[10:11], v[10:11], -v[14:15]
	v_add_f64_e32 v[14:15], v[84:85], v[165:166]
	v_fma_f64 v[76:77], v[12:13], -0.5, v[76:77]
	s_delay_alu instid0(VALU_DEP_2) | instskip(SKIP_1) | instid1(VALU_DEP_2)
	v_fma_f64 v[26:27], v[14:15], -0.5, v[78:79]
	v_add_f64_e64 v[78:79], v[84:85], -v[165:166]
	v_fma_f64 v[12:13], v[24:25], s[12:13], v[26:27]
	s_delay_alu instid0(VALU_DEP_2) | instskip(SKIP_2) | instid1(VALU_DEP_4)
	v_fma_f64 v[16:17], v[78:79], s[14:15], v[76:77]
	v_fma_f64 v[24:25], v[24:25], s[14:15], v[26:27]
	;; [unrolled: 1-line block ×3, first 2 shown]
	v_mul_f64_e32 v[14:15], s[14:15], v[12:13]
	v_mul_f64_e32 v[12:13], 0.5, v[12:13]
	s_delay_alu instid0(VALU_DEP_2) | instskip(NEXT) | instid1(VALU_DEP_2)
	v_fma_f64 v[18:19], v[16:17], 0.5, v[14:15]
	v_fma_f64 v[80:81], v[16:17], s[12:13], v[12:13]
	v_fma_f64 v[16:17], v[28:29], s[14:15], v[20:21]
	;; [unrolled: 1-line block ×4, first 2 shown]
	v_mul_f64_e32 v[22:23], s[14:15], v[24:25]
	v_mul_f64_e32 v[24:25], -0.5, v[24:25]
	v_add_f64_e32 v[14:15], v[82:83], v[80:81]
	v_add_f64_e32 v[12:13], v[16:17], v[18:19]
	v_add_f64_e64 v[16:17], v[16:17], -v[18:19]
	v_add_f64_e64 v[18:19], v[82:83], -v[80:81]
	v_fma_f64 v[30:31], v[20:21], -0.5, v[22:23]
	v_fma_f64 v[76:77], v[20:21], s[12:13], v[24:25]
	s_delay_alu instid0(VALU_DEP_2) | instskip(NEXT) | instid1(VALU_DEP_2)
	v_add_f64_e32 v[20:21], v[26:27], v[30:31]
	v_add_f64_e32 v[22:23], v[28:29], v[76:77]
	v_add_f64_e64 v[24:25], v[26:27], -v[30:31]
	v_add_f64_e64 v[26:27], v[28:29], -v[76:77]
	scratch_load_b32 v28, off, off offset:736 th:TH_LOAD_LU ; 4-byte Folded Reload
	s_wait_loadcnt 0x0
	ds_store_b128 v28, v[4:7]
	ds_store_b128 v28, v[12:15] offset:96
	ds_store_b128 v28, v[20:23] offset:192
	;; [unrolled: 1-line block ×5, first 2 shown]
	v_add_f64_e32 v[4:5], v[60:61], v[68:69]
	v_add_f64_e64 v[20:21], v[66:67], -v[74:75]
	v_add_f64_e64 v[28:29], v[64:65], -v[72:73]
	;; [unrolled: 1-line block ×4, first 2 shown]
	v_fma_f64 v[16:17], v[4:5], -0.5, v[0:1]
	v_add_f64_e32 v[4:5], v[62:63], v[70:71]
	v_add_f64_e32 v[0:1], v[0:1], v[60:61]
	s_delay_alu instid0(VALU_DEP_2) | instskip(NEXT) | instid1(VALU_DEP_2)
	v_fma_f64 v[18:19], v[4:5], -0.5, v[2:3]
	v_add_f64_e32 v[4:5], v[0:1], v[68:69]
	v_add_f64_e32 v[0:1], v[56:57], v[66:67]
	;; [unrolled: 1-line block ×3, first 2 shown]
	s_delay_alu instid0(VALU_DEP_2) | instskip(SKIP_1) | instid1(VALU_DEP_3)
	v_add_f64_e32 v[8:9], v[0:1], v[74:75]
	v_add_f64_e32 v[0:1], v[58:59], v[64:65]
	;; [unrolled: 1-line block ×3, first 2 shown]
	s_delay_alu instid0(VALU_DEP_2) | instskip(NEXT) | instid1(VALU_DEP_4)
	v_add_f64_e32 v[10:11], v[0:1], v[72:73]
	v_add_f64_e32 v[0:1], v[4:5], v[8:9]
	v_add_f64_e64 v[4:5], v[4:5], -v[8:9]
	v_add_f64_e32 v[8:9], v[66:67], v[74:75]
	s_delay_alu instid0(VALU_DEP_4) | instskip(SKIP_2) | instid1(VALU_DEP_4)
	v_add_f64_e32 v[2:3], v[6:7], v[10:11]
	v_add_f64_e64 v[6:7], v[6:7], -v[10:11]
	v_add_f64_e32 v[10:11], v[64:65], v[72:73]
	v_fma_f64 v[30:31], v[8:9], -0.5, v[56:57]
	s_delay_alu instid0(VALU_DEP_2) | instskip(NEXT) | instid1(VALU_DEP_2)
	v_fma_f64 v[22:23], v[10:11], -0.5, v[58:59]
	v_fma_f64 v[12:13], v[28:29], s[14:15], v[30:31]
	v_fma_f64 v[58:59], v[26:27], s[12:13], v[18:19]
	s_delay_alu instid0(VALU_DEP_3) | instskip(SKIP_2) | instid1(VALU_DEP_3)
	v_fma_f64 v[8:9], v[20:21], s[12:13], v[22:23]
	v_fma_f64 v[20:21], v[20:21], s[14:15], v[22:23]
	;; [unrolled: 1-line block ×3, first 2 shown]
	v_mul_f64_e32 v[10:11], s[14:15], v[8:9]
	v_mul_f64_e32 v[8:9], 0.5, v[8:9]
	s_delay_alu instid0(VALU_DEP_2) | instskip(NEXT) | instid1(VALU_DEP_2)
	v_fma_f64 v[14:15], v[12:13], 0.5, v[10:11]
	v_fma_f64 v[56:57], v[12:13], s[12:13], v[8:9]
	v_fma_f64 v[12:13], v[24:25], s[14:15], v[16:17]
	;; [unrolled: 1-line block ×4, first 2 shown]
	v_mul_f64_e32 v[18:19], s[14:15], v[20:21]
	v_mul_f64_e32 v[20:21], -0.5, v[20:21]
	v_add_f64_e32 v[10:11], v[58:59], v[56:57]
	v_add_f64_e32 v[8:9], v[12:13], v[14:15]
	v_add_f64_e64 v[12:13], v[12:13], -v[14:15]
	v_add_f64_e64 v[14:15], v[58:59], -v[56:57]
	v_fma_f64 v[26:27], v[16:17], -0.5, v[18:19]
	v_fma_f64 v[28:29], v[16:17], s[12:13], v[20:21]
	s_delay_alu instid0(VALU_DEP_2) | instskip(NEXT) | instid1(VALU_DEP_2)
	v_add_f64_e32 v[16:17], v[22:23], v[26:27]
	v_add_f64_e32 v[18:19], v[24:25], v[28:29]
	v_add_f64_e64 v[20:21], v[22:23], -v[26:27]
	v_add_f64_e64 v[22:23], v[24:25], -v[28:29]
	scratch_load_b32 v24, off, off offset:732 th:TH_LOAD_LU ; 4-byte Folded Reload
	s_wait_loadcnt 0x0
	ds_store_b128 v24, v[0:3]
	ds_store_b128 v24, v[8:11] offset:96
	ds_store_b128 v24, v[16:19] offset:192
	;; [unrolled: 1-line block ×5, first 2 shown]
	v_add_f64_e32 v[0:1], v[40:41], v[48:49]
	v_add_f64_e32 v[2:3], v[34:35], v[42:43]
	v_add_f64_e64 v[20:21], v[46:47], -v[54:55]
	v_add_f64_e64 v[28:29], v[44:45], -v[52:53]
	;; [unrolled: 1-line block ×4, first 2 shown]
	v_fma_f64 v[16:17], v[0:1], -0.5, v[32:33]
	v_add_f64_e32 v[0:1], v[42:43], v[50:51]
	v_add_f64_e32 v[6:7], v[2:3], v[50:51]
	s_delay_alu instid0(VALU_DEP_2) | instskip(SKIP_1) | instid1(VALU_DEP_2)
	v_fma_f64 v[18:19], v[0:1], -0.5, v[34:35]
	v_add_f64_e32 v[0:1], v[32:33], v[40:41]
	v_fma_f64 v[34:35], v[26:27], s[12:13], v[18:19]
	s_delay_alu instid0(VALU_DEP_2) | instskip(SKIP_1) | instid1(VALU_DEP_1)
	v_add_f64_e32 v[4:5], v[0:1], v[48:49]
	v_add_f64_e32 v[0:1], v[36:37], v[46:47]
	v_add_f64_e32 v[8:9], v[0:1], v[54:55]
	v_add_f64_e32 v[0:1], v[38:39], v[44:45]
	s_delay_alu instid0(VALU_DEP_1) | instskip(NEXT) | instid1(VALU_DEP_3)
	v_add_f64_e32 v[10:11], v[0:1], v[52:53]
	v_add_f64_e32 v[0:1], v[4:5], v[8:9]
	v_add_f64_e64 v[4:5], v[4:5], -v[8:9]
	v_add_f64_e32 v[8:9], v[46:47], v[54:55]
	s_delay_alu instid0(VALU_DEP_4) | instskip(SKIP_2) | instid1(VALU_DEP_4)
	v_add_f64_e32 v[2:3], v[6:7], v[10:11]
	v_add_f64_e64 v[6:7], v[6:7], -v[10:11]
	v_add_f64_e32 v[10:11], v[44:45], v[52:53]
	v_fma_f64 v[30:31], v[8:9], -0.5, v[36:37]
	s_delay_alu instid0(VALU_DEP_2) | instskip(NEXT) | instid1(VALU_DEP_2)
	v_fma_f64 v[22:23], v[10:11], -0.5, v[38:39]
	v_fma_f64 v[12:13], v[28:29], s[14:15], v[30:31]
	s_delay_alu instid0(VALU_DEP_2) | instskip(SKIP_2) | instid1(VALU_DEP_3)
	v_fma_f64 v[8:9], v[20:21], s[12:13], v[22:23]
	v_fma_f64 v[20:21], v[20:21], s[14:15], v[22:23]
	;; [unrolled: 1-line block ×3, first 2 shown]
	v_mul_f64_e32 v[10:11], s[14:15], v[8:9]
	v_mul_f64_e32 v[8:9], 0.5, v[8:9]
	s_delay_alu instid0(VALU_DEP_2) | instskip(NEXT) | instid1(VALU_DEP_2)
	v_fma_f64 v[14:15], v[12:13], 0.5, v[10:11]
	v_fma_f64 v[32:33], v[12:13], s[12:13], v[8:9]
	v_fma_f64 v[12:13], v[24:25], s[14:15], v[16:17]
	;; [unrolled: 1-line block ×4, first 2 shown]
	v_mul_f64_e32 v[18:19], s[14:15], v[20:21]
	v_mul_f64_e32 v[20:21], -0.5, v[20:21]
	v_add_f64_e32 v[10:11], v[34:35], v[32:33]
	v_add_f64_e32 v[8:9], v[12:13], v[14:15]
	v_add_f64_e64 v[12:13], v[12:13], -v[14:15]
	v_add_f64_e64 v[14:15], v[34:35], -v[32:33]
	v_fma_f64 v[26:27], v[16:17], -0.5, v[18:19]
	v_fma_f64 v[28:29], v[16:17], s[12:13], v[20:21]
	s_delay_alu instid0(VALU_DEP_2) | instskip(NEXT) | instid1(VALU_DEP_2)
	v_add_f64_e32 v[16:17], v[22:23], v[26:27]
	v_add_f64_e32 v[18:19], v[24:25], v[28:29]
	v_add_f64_e64 v[20:21], v[22:23], -v[26:27]
	v_add_f64_e64 v[22:23], v[24:25], -v[28:29]
	scratch_load_b32 v24, off, off offset:728 th:TH_LOAD_LU ; 4-byte Folded Reload
	s_wait_loadcnt 0x0
	ds_store_b128 v24, v[0:3]
	ds_store_b128 v24, v[8:11] offset:96
	ds_store_b128 v24, v[16:19] offset:192
	;; [unrolled: 1-line block ×5, first 2 shown]
	global_wb scope:SCOPE_SE
	s_wait_dscnt 0x0
	s_barrier_signal -1
	s_barrier_wait -1
	global_inv scope:SCOPE_SE
	s_clause 0x1
	scratch_load_b128 v[10:13], off, off offset:740 th:TH_LOAD_LU
	scratch_load_b128 v[14:17], off, off offset:760 th:TH_LOAD_LU
	ds_load_b128 v[0:3], v92 offset:9216
	s_wait_loadcnt_dscnt 0x100
	v_mul_f64_e32 v[4:5], v[12:13], v[2:3]
	s_delay_alu instid0(VALU_DEP_1) | instskip(SKIP_1) | instid1(VALU_DEP_1)
	v_fma_f64 v[8:9], v[10:11], v[0:1], v[4:5]
	v_mul_f64_e32 v[0:1], v[12:13], v[0:1]
	v_fma_f64 v[10:11], v[10:11], v[2:3], -v[0:1]
	ds_load_b128 v[0:3], v92 offset:18432
	s_wait_loadcnt_dscnt 0x0
	v_mul_f64_e32 v[4:5], v[16:17], v[2:3]
	s_delay_alu instid0(VALU_DEP_1)
	v_fma_f64 v[12:13], v[14:15], v[0:1], v[4:5]
	v_mul_f64_e32 v[0:1], v[16:17], v[0:1]
	scratch_load_b128 v[16:19], off, off offset:776 th:TH_LOAD_LU ; 16-byte Folded Reload
	v_fma_f64 v[14:15], v[14:15], v[2:3], -v[0:1]
	ds_load_b128 v[0:3], v92 offset:27648
	s_wait_loadcnt_dscnt 0x0
	v_mul_f64_e32 v[4:5], v[18:19], v[2:3]
	s_delay_alu instid0(VALU_DEP_1) | instskip(SKIP_1) | instid1(VALU_DEP_1)
	v_fma_f64 v[20:21], v[16:17], v[0:1], v[4:5]
	v_mul_f64_e32 v[0:1], v[18:19], v[0:1]
	v_fma_f64 v[22:23], v[16:17], v[2:3], -v[0:1]
	scratch_load_b128 v[16:19], off, off offset:792 th:TH_LOAD_LU ; 16-byte Folded Reload
	ds_load_b128 v[0:3], v92 offset:36864
	v_add_f64_e32 v[6:7], v[10:11], v[22:23]
	s_wait_loadcnt_dscnt 0x0
	v_mul_f64_e32 v[4:5], v[18:19], v[2:3]
	s_delay_alu instid0(VALU_DEP_1) | instskip(SKIP_1) | instid1(VALU_DEP_1)
	v_fma_f64 v[24:25], v[16:17], v[0:1], v[4:5]
	v_mul_f64_e32 v[0:1], v[18:19], v[0:1]
	v_fma_f64 v[26:27], v[16:17], v[2:3], -v[0:1]
	scratch_load_b128 v[16:19], off, off offset:808 th:TH_LOAD_LU ; 16-byte Folded Reload
	ds_load_b128 v[0:3], v92 offset:46080
	s_wait_loadcnt_dscnt 0x0
	v_mul_f64_e32 v[4:5], v[18:19], v[2:3]
	s_delay_alu instid0(VALU_DEP_1) | instskip(SKIP_1) | instid1(VALU_DEP_1)
	v_fma_f64 v[28:29], v[16:17], v[0:1], v[4:5]
	v_mul_f64_e32 v[0:1], v[18:19], v[0:1]
	v_fma_f64 v[30:31], v[16:17], v[2:3], -v[0:1]
	scratch_load_b128 v[16:19], off, off offset:824 th:TH_LOAD_LU ; 16-byte Folded Reload
	ds_load_b128 v[0:3], v92 offset:11520
	v_add_f64_e32 v[6:7], v[6:7], v[30:31]
	s_wait_loadcnt_dscnt 0x0
	v_mul_f64_e32 v[4:5], v[18:19], v[2:3]
	s_delay_alu instid0(VALU_DEP_1) | instskip(SKIP_1) | instid1(VALU_DEP_1)
	v_fma_f64 v[76:77], v[16:17], v[0:1], v[4:5]
	v_mul_f64_e32 v[0:1], v[18:19], v[0:1]
	v_fma_f64 v[78:79], v[16:17], v[2:3], -v[0:1]
	scratch_load_b128 v[16:19], off, off offset:840 th:TH_LOAD_LU ; 16-byte Folded Reload
	ds_load_b128 v[0:3], v92 offset:20736
	s_wait_loadcnt_dscnt 0x0
	v_mul_f64_e32 v[4:5], v[18:19], v[2:3]
	s_delay_alu instid0(VALU_DEP_1) | instskip(SKIP_1) | instid1(VALU_DEP_1)
	v_fma_f64 v[80:81], v[16:17], v[0:1], v[4:5]
	v_mul_f64_e32 v[0:1], v[18:19], v[0:1]
	v_fma_f64 v[82:83], v[16:17], v[2:3], -v[0:1]
	scratch_load_b128 v[16:19], off, off offset:856 th:TH_LOAD_LU ; 16-byte Folded Reload
	ds_load_b128 v[0:3], v92 offset:29952
	;; [unrolled: 8-line block ×13, first 2 shown]
	s_wait_loadcnt_dscnt 0x0
	v_mul_f64_e32 v[4:5], v[18:19], v[2:3]
	s_delay_alu instid0(VALU_DEP_1) | instskip(SKIP_1) | instid1(VALU_DEP_1)
	v_fma_f64 v[48:49], v[16:17], v[0:1], v[4:5]
	v_mul_f64_e32 v[0:1], v[18:19], v[0:1]
	v_fma_f64 v[50:51], v[16:17], v[2:3], -v[0:1]
	ds_load_b128 v[0:3], v92 offset:52992
	s_wait_dscnt 0x0
	v_mul_f64_e32 v[4:5], v[254:255], v[2:3]
	s_delay_alu instid0(VALU_DEP_1) | instskip(SKIP_2) | instid1(VALU_DEP_2)
	v_fma_f64 v[54:55], v[252:253], v[0:1], v[4:5]
	v_mul_f64_e32 v[0:1], v[254:255], v[0:1]
	v_add_f64_e32 v[4:5], v[12:13], v[24:25]
	v_fma_f64 v[52:53], v[252:253], v[2:3], -v[0:1]
	ds_load_b128 v[0:3], v92
	s_wait_dscnt 0x0
	v_fma_f64 v[32:33], v[4:5], -0.5, v[0:1]
	v_add_f64_e32 v[4:5], v[14:15], v[26:27]
	v_add_f64_e32 v[0:1], v[0:1], v[12:13]
	v_add_f64_e64 v[12:13], v[12:13], -v[24:25]
	s_delay_alu instid0(VALU_DEP_3)
	v_fma_f64 v[34:35], v[4:5], -0.5, v[2:3]
	v_add_f64_e32 v[2:3], v[2:3], v[14:15]
	v_add_f64_e32 v[4:5], v[8:9], v[20:21]
	;; [unrolled: 1-line block ×3, first 2 shown]
	v_add_f64_e64 v[24:25], v[22:23], -v[30:31]
	v_add_f64_e64 v[14:15], v[14:15], -v[26:27]
	v_add_f64_e32 v[2:3], v[2:3], v[26:27]
	v_add_f64_e32 v[4:5], v[4:5], v[28:29]
	s_delay_alu instid0(VALU_DEP_2) | instskip(NEXT) | instid1(VALU_DEP_2)
	v_add_f64_e32 v[18:19], v[2:3], v[6:7]
	v_add_f64_e32 v[16:17], v[0:1], v[4:5]
	v_add_f64_e64 v[4:5], v[0:1], -v[4:5]
	v_add_f64_e64 v[6:7], v[2:3], -v[6:7]
	v_add_f64_e32 v[0:1], v[20:21], v[28:29]
	v_add_f64_e64 v[2:3], v[20:21], -v[28:29]
	v_add_f64_e32 v[20:21], v[22:23], v[30:31]
	v_fma_f64 v[30:31], v[12:13], s[12:13], v[34:35]
	v_fma_f64 v[12:13], v[12:13], s[14:15], v[34:35]
	v_fma_f64 v[0:1], v[0:1], -0.5, v[8:9]
	s_delay_alu instid0(VALU_DEP_4) | instskip(NEXT) | instid1(VALU_DEP_2)
	v_fma_f64 v[28:29], v[20:21], -0.5, v[10:11]
	v_fma_f64 v[20:21], v[24:25], s[14:15], v[0:1]
	v_fma_f64 v[0:1], v[24:25], s[12:13], v[0:1]
	s_delay_alu instid0(VALU_DEP_3) | instskip(SKIP_1) | instid1(VALU_DEP_2)
	v_fma_f64 v[8:9], v[2:3], s[12:13], v[28:29]
	v_fma_f64 v[2:3], v[2:3], s[14:15], v[28:29]
	v_mul_f64_e32 v[10:11], s[14:15], v[8:9]
	v_mul_f64_e32 v[8:9], 0.5, v[8:9]
	s_delay_alu instid0(VALU_DEP_3) | instskip(SKIP_1) | instid1(VALU_DEP_4)
	v_mul_f64_e32 v[24:25], s[14:15], v[2:3]
	v_mul_f64_e32 v[2:3], -0.5, v[2:3]
	v_fma_f64 v[10:11], v[20:21], 0.5, v[10:11]
	s_delay_alu instid0(VALU_DEP_4)
	v_fma_f64 v[26:27], v[20:21], s[12:13], v[8:9]
	v_fma_f64 v[8:9], v[14:15], s[14:15], v[32:33]
	;; [unrolled: 1-line block ×3, first 2 shown]
	v_fma_f64 v[24:25], v[0:1], -0.5, v[24:25]
	v_fma_f64 v[0:1], v[0:1], s[12:13], v[2:3]
	v_add_f64_e32 v[22:23], v[30:31], v[26:27]
	v_add_f64_e32 v[20:21], v[8:9], v[10:11]
	v_add_f64_e64 v[8:9], v[8:9], -v[10:11]
	v_add_f64_e64 v[10:11], v[30:31], -v[26:27]
	v_add_f64_e32 v[28:29], v[14:15], v[24:25]
	v_add_f64_e32 v[30:31], v[12:13], v[0:1]
	v_add_f64_e64 v[24:25], v[14:15], -v[24:25]
	v_add_f64_e64 v[26:27], v[12:13], -v[0:1]
	ds_load_b128 v[12:15], v92 offset:2304
	ds_load_b128 v[0:3], v92 offset:4608
	;; [unrolled: 1-line block ×3, first 2 shown]
	global_wb scope:SCOPE_SE
	s_wait_dscnt 0x0
	s_barrier_signal -1
	s_barrier_wait -1
	global_inv scope:SCOPE_SE
	scratch_load_b32 v93, off, off offset:1056 th:TH_LOAD_LU ; 4-byte Folded Reload
	s_wait_loadcnt 0x0
	ds_store_b128 v93, v[16:19]
	ds_store_b128 v93, v[4:7] offset:1728
	ds_store_b128 v93, v[20:23] offset:576
	ds_store_b128 v93, v[28:31] offset:1152
	ds_store_b128 v93, v[8:11] offset:2304
	ds_store_b128 v93, v[24:27] offset:2880
	v_add_f64_e32 v[4:5], v[80:81], v[88:89]
	v_add_f64_e32 v[6:7], v[14:15], v[82:83]
	v_add_f64_e64 v[24:25], v[86:87], -v[94:95]
	v_add_f64_e64 v[28:29], v[82:83], -v[90:91]
	;; [unrolled: 1-line block ×3, first 2 shown]
	v_fma_f64 v[20:21], v[4:5], -0.5, v[12:13]
	v_add_f64_e32 v[4:5], v[82:83], v[90:91]
	v_add_f64_e32 v[10:11], v[6:7], v[90:91]
	s_delay_alu instid0(VALU_DEP_2) | instskip(SKIP_1) | instid1(VALU_DEP_2)
	v_fma_f64 v[22:23], v[4:5], -0.5, v[14:15]
	v_add_f64_e32 v[4:5], v[12:13], v[80:81]
	v_fma_f64 v[82:83], v[30:31], s[12:13], v[22:23]
	s_delay_alu instid0(VALU_DEP_2) | instskip(SKIP_1) | instid1(VALU_DEP_1)
	v_add_f64_e32 v[8:9], v[4:5], v[88:89]
	v_add_f64_e32 v[4:5], v[76:77], v[86:87]
	;; [unrolled: 1-line block ×4, first 2 shown]
	s_delay_alu instid0(VALU_DEP_1) | instskip(NEXT) | instid1(VALU_DEP_3)
	v_add_f64_e32 v[14:15], v[4:5], v[165:166]
	v_add_f64_e32 v[4:5], v[8:9], v[12:13]
	v_add_f64_e64 v[8:9], v[8:9], -v[12:13]
	v_add_f64_e32 v[12:13], v[86:87], v[94:95]
	s_delay_alu instid0(VALU_DEP_4) | instskip(SKIP_2) | instid1(VALU_DEP_4)
	v_add_f64_e32 v[6:7], v[10:11], v[14:15]
	v_add_f64_e64 v[10:11], v[10:11], -v[14:15]
	v_add_f64_e32 v[14:15], v[84:85], v[165:166]
	v_fma_f64 v[76:77], v[12:13], -0.5, v[76:77]
	s_delay_alu instid0(VALU_DEP_2) | instskip(SKIP_1) | instid1(VALU_DEP_2)
	v_fma_f64 v[26:27], v[14:15], -0.5, v[78:79]
	v_add_f64_e64 v[78:79], v[84:85], -v[165:166]
	v_fma_f64 v[12:13], v[24:25], s[12:13], v[26:27]
	s_delay_alu instid0(VALU_DEP_2) | instskip(SKIP_2) | instid1(VALU_DEP_4)
	v_fma_f64 v[16:17], v[78:79], s[14:15], v[76:77]
	v_fma_f64 v[24:25], v[24:25], s[14:15], v[26:27]
	;; [unrolled: 1-line block ×3, first 2 shown]
	v_mul_f64_e32 v[14:15], s[14:15], v[12:13]
	v_mul_f64_e32 v[12:13], 0.5, v[12:13]
	s_delay_alu instid0(VALU_DEP_2) | instskip(NEXT) | instid1(VALU_DEP_2)
	v_fma_f64 v[18:19], v[16:17], 0.5, v[14:15]
	v_fma_f64 v[80:81], v[16:17], s[12:13], v[12:13]
	v_fma_f64 v[16:17], v[28:29], s[14:15], v[20:21]
	v_fma_f64 v[28:29], v[30:31], s[14:15], v[22:23]
	v_fma_f64 v[20:21], v[78:79], s[12:13], v[76:77]
	v_mul_f64_e32 v[22:23], s[14:15], v[24:25]
	v_mul_f64_e32 v[24:25], -0.5, v[24:25]
	v_add_f64_e32 v[14:15], v[82:83], v[80:81]
	v_add_f64_e32 v[12:13], v[16:17], v[18:19]
	v_add_f64_e64 v[16:17], v[16:17], -v[18:19]
	v_add_f64_e64 v[18:19], v[82:83], -v[80:81]
	v_fma_f64 v[30:31], v[20:21], -0.5, v[22:23]
	v_fma_f64 v[76:77], v[20:21], s[12:13], v[24:25]
	s_delay_alu instid0(VALU_DEP_2) | instskip(NEXT) | instid1(VALU_DEP_2)
	v_add_f64_e32 v[20:21], v[26:27], v[30:31]
	v_add_f64_e32 v[22:23], v[28:29], v[76:77]
	v_add_f64_e64 v[24:25], v[26:27], -v[30:31]
	v_add_f64_e64 v[26:27], v[28:29], -v[76:77]
	ds_store_b128 v167, v[4:7]
	ds_store_b128 v167, v[12:15] offset:576
	ds_store_b128 v167, v[20:23] offset:1152
	;; [unrolled: 1-line block ×5, first 2 shown]
	v_add_f64_e32 v[4:5], v[60:61], v[68:69]
	v_add_f64_e64 v[20:21], v[66:67], -v[74:75]
	v_add_f64_e64 v[28:29], v[64:65], -v[72:73]
	;; [unrolled: 1-line block ×4, first 2 shown]
	v_fma_f64 v[16:17], v[4:5], -0.5, v[0:1]
	v_add_f64_e32 v[4:5], v[62:63], v[70:71]
	v_add_f64_e32 v[0:1], v[0:1], v[60:61]
	s_delay_alu instid0(VALU_DEP_2) | instskip(NEXT) | instid1(VALU_DEP_2)
	v_fma_f64 v[18:19], v[4:5], -0.5, v[2:3]
	v_add_f64_e32 v[4:5], v[0:1], v[68:69]
	v_add_f64_e32 v[0:1], v[56:57], v[66:67]
	;; [unrolled: 1-line block ×3, first 2 shown]
	s_delay_alu instid0(VALU_DEP_2) | instskip(SKIP_1) | instid1(VALU_DEP_3)
	v_add_f64_e32 v[8:9], v[0:1], v[74:75]
	v_add_f64_e32 v[0:1], v[58:59], v[64:65]
	;; [unrolled: 1-line block ×3, first 2 shown]
	s_delay_alu instid0(VALU_DEP_2) | instskip(NEXT) | instid1(VALU_DEP_4)
	v_add_f64_e32 v[10:11], v[0:1], v[72:73]
	v_add_f64_e32 v[0:1], v[4:5], v[8:9]
	v_add_f64_e64 v[4:5], v[4:5], -v[8:9]
	v_add_f64_e32 v[8:9], v[66:67], v[74:75]
	s_delay_alu instid0(VALU_DEP_4) | instskip(SKIP_2) | instid1(VALU_DEP_4)
	v_add_f64_e32 v[2:3], v[6:7], v[10:11]
	v_add_f64_e64 v[6:7], v[6:7], -v[10:11]
	v_add_f64_e32 v[10:11], v[64:65], v[72:73]
	v_fma_f64 v[30:31], v[8:9], -0.5, v[56:57]
	s_delay_alu instid0(VALU_DEP_2) | instskip(NEXT) | instid1(VALU_DEP_2)
	v_fma_f64 v[22:23], v[10:11], -0.5, v[58:59]
	v_fma_f64 v[12:13], v[28:29], s[14:15], v[30:31]
	v_fma_f64 v[58:59], v[26:27], s[12:13], v[18:19]
	s_delay_alu instid0(VALU_DEP_3) | instskip(SKIP_2) | instid1(VALU_DEP_3)
	v_fma_f64 v[8:9], v[20:21], s[12:13], v[22:23]
	v_fma_f64 v[20:21], v[20:21], s[14:15], v[22:23]
	;; [unrolled: 1-line block ×3, first 2 shown]
	v_mul_f64_e32 v[10:11], s[14:15], v[8:9]
	v_mul_f64_e32 v[8:9], 0.5, v[8:9]
	s_delay_alu instid0(VALU_DEP_2) | instskip(NEXT) | instid1(VALU_DEP_2)
	v_fma_f64 v[14:15], v[12:13], 0.5, v[10:11]
	v_fma_f64 v[56:57], v[12:13], s[12:13], v[8:9]
	v_fma_f64 v[12:13], v[24:25], s[14:15], v[16:17]
	v_fma_f64 v[24:25], v[26:27], s[14:15], v[18:19]
	v_fma_f64 v[16:17], v[28:29], s[12:13], v[30:31]
	v_mul_f64_e32 v[18:19], s[14:15], v[20:21]
	v_mul_f64_e32 v[20:21], -0.5, v[20:21]
	v_add_f64_e32 v[10:11], v[58:59], v[56:57]
	v_add_f64_e32 v[8:9], v[12:13], v[14:15]
	v_add_f64_e64 v[12:13], v[12:13], -v[14:15]
	v_add_f64_e64 v[14:15], v[58:59], -v[56:57]
	v_fma_f64 v[26:27], v[16:17], -0.5, v[18:19]
	v_fma_f64 v[28:29], v[16:17], s[12:13], v[20:21]
	s_delay_alu instid0(VALU_DEP_2) | instskip(NEXT) | instid1(VALU_DEP_2)
	v_add_f64_e32 v[16:17], v[22:23], v[26:27]
	v_add_f64_e32 v[18:19], v[24:25], v[28:29]
	v_add_f64_e64 v[20:21], v[22:23], -v[26:27]
	v_add_f64_e64 v[22:23], v[24:25], -v[28:29]
	scratch_load_b32 v24, off, off offset:1052 th:TH_LOAD_LU ; 4-byte Folded Reload
	s_wait_loadcnt 0x0
	ds_store_b128 v24, v[0:3]
	ds_store_b128 v24, v[8:11] offset:576
	ds_store_b128 v24, v[16:19] offset:1152
	;; [unrolled: 1-line block ×5, first 2 shown]
	v_add_f64_e32 v[0:1], v[40:41], v[48:49]
	v_add_f64_e32 v[2:3], v[34:35], v[42:43]
	v_add_f64_e64 v[20:21], v[46:47], -v[54:55]
	v_add_f64_e64 v[28:29], v[44:45], -v[52:53]
	;; [unrolled: 1-line block ×4, first 2 shown]
	v_fma_f64 v[16:17], v[0:1], -0.5, v[32:33]
	v_add_f64_e32 v[0:1], v[42:43], v[50:51]
	v_add_f64_e32 v[6:7], v[2:3], v[50:51]
	s_delay_alu instid0(VALU_DEP_2) | instskip(SKIP_1) | instid1(VALU_DEP_2)
	v_fma_f64 v[18:19], v[0:1], -0.5, v[34:35]
	v_add_f64_e32 v[0:1], v[32:33], v[40:41]
	v_fma_f64 v[34:35], v[26:27], s[12:13], v[18:19]
	s_delay_alu instid0(VALU_DEP_2) | instskip(SKIP_1) | instid1(VALU_DEP_1)
	v_add_f64_e32 v[4:5], v[0:1], v[48:49]
	v_add_f64_e32 v[0:1], v[36:37], v[46:47]
	;; [unrolled: 1-line block ×4, first 2 shown]
	s_delay_alu instid0(VALU_DEP_1) | instskip(NEXT) | instid1(VALU_DEP_3)
	v_add_f64_e32 v[10:11], v[0:1], v[52:53]
	v_add_f64_e32 v[0:1], v[4:5], v[8:9]
	v_add_f64_e64 v[4:5], v[4:5], -v[8:9]
	v_add_f64_e32 v[8:9], v[46:47], v[54:55]
	s_delay_alu instid0(VALU_DEP_4) | instskip(SKIP_2) | instid1(VALU_DEP_4)
	v_add_f64_e32 v[2:3], v[6:7], v[10:11]
	v_add_f64_e64 v[6:7], v[6:7], -v[10:11]
	v_add_f64_e32 v[10:11], v[44:45], v[52:53]
	v_fma_f64 v[30:31], v[8:9], -0.5, v[36:37]
	s_delay_alu instid0(VALU_DEP_2) | instskip(NEXT) | instid1(VALU_DEP_2)
	v_fma_f64 v[22:23], v[10:11], -0.5, v[38:39]
	v_fma_f64 v[12:13], v[28:29], s[14:15], v[30:31]
	s_delay_alu instid0(VALU_DEP_2) | instskip(SKIP_2) | instid1(VALU_DEP_3)
	v_fma_f64 v[8:9], v[20:21], s[12:13], v[22:23]
	v_fma_f64 v[20:21], v[20:21], s[14:15], v[22:23]
	;; [unrolled: 1-line block ×3, first 2 shown]
	v_mul_f64_e32 v[10:11], s[14:15], v[8:9]
	v_mul_f64_e32 v[8:9], 0.5, v[8:9]
	s_delay_alu instid0(VALU_DEP_2) | instskip(NEXT) | instid1(VALU_DEP_2)
	v_fma_f64 v[14:15], v[12:13], 0.5, v[10:11]
	v_fma_f64 v[32:33], v[12:13], s[12:13], v[8:9]
	v_fma_f64 v[12:13], v[24:25], s[14:15], v[16:17]
	;; [unrolled: 1-line block ×4, first 2 shown]
	v_mul_f64_e32 v[18:19], s[14:15], v[20:21]
	v_mul_f64_e32 v[20:21], -0.5, v[20:21]
	v_add_f64_e32 v[10:11], v[34:35], v[32:33]
	v_add_f64_e32 v[8:9], v[12:13], v[14:15]
	v_add_f64_e64 v[12:13], v[12:13], -v[14:15]
	v_add_f64_e64 v[14:15], v[34:35], -v[32:33]
	v_fma_f64 v[26:27], v[16:17], -0.5, v[18:19]
	v_fma_f64 v[28:29], v[16:17], s[12:13], v[20:21]
	s_delay_alu instid0(VALU_DEP_2) | instskip(NEXT) | instid1(VALU_DEP_2)
	v_add_f64_e32 v[16:17], v[22:23], v[26:27]
	v_add_f64_e32 v[18:19], v[24:25], v[28:29]
	v_add_f64_e64 v[20:21], v[22:23], -v[26:27]
	v_add_f64_e64 v[22:23], v[24:25], -v[28:29]
	scratch_load_b32 v24, off, off offset:1048 th:TH_LOAD_LU ; 4-byte Folded Reload
	s_wait_loadcnt 0x0
	ds_store_b128 v24, v[0:3]
	ds_store_b128 v24, v[8:11] offset:576
	ds_store_b128 v24, v[16:19] offset:1152
	;; [unrolled: 1-line block ×5, first 2 shown]
	global_wb scope:SCOPE_SE
	s_wait_dscnt 0x0
	s_barrier_signal -1
	s_barrier_wait -1
	global_inv scope:SCOPE_SE
	ds_load_b128 v[0:3], v92 offset:13824
	s_wait_dscnt 0x0
	v_mul_f64_e32 v[4:5], v[250:251], v[2:3]
	s_delay_alu instid0(VALU_DEP_1) | instskip(SKIP_1) | instid1(VALU_DEP_1)
	v_fma_f64 v[76:77], v[248:249], v[0:1], v[4:5]
	v_mul_f64_e32 v[0:1], v[250:251], v[0:1]
	v_fma_f64 v[78:79], v[248:249], v[2:3], -v[0:1]
	ds_load_b128 v[0:3], v92 offset:27648
	s_wait_dscnt 0x0
	v_mul_f64_e32 v[4:5], v[246:247], v[2:3]
	s_delay_alu instid0(VALU_DEP_1) | instskip(SKIP_1) | instid1(VALU_DEP_1)
	v_fma_f64 v[4:5], v[244:245], v[0:1], v[4:5]
	v_mul_f64_e32 v[0:1], v[246:247], v[0:1]
	v_fma_f64 v[6:7], v[244:245], v[2:3], -v[0:1]
	;; [unrolled: 7-line block ×17, first 2 shown]
	ds_load_b128 v[0:3], v92 offset:52992
	s_wait_dscnt 0x0
	v_mul_f64_e32 v[12:13], v[170:171], v[2:3]
	s_delay_alu instid0(VALU_DEP_1) | instskip(SKIP_2) | instid1(VALU_DEP_2)
	v_fma_f64 v[36:37], v[168:169], v[0:1], v[12:13]
	v_mul_f64_e32 v[0:1], v[170:171], v[0:1]
	v_add_f64_e64 v[170:171], v[76:77], -v[8:9]
	v_fma_f64 v[38:39], v[168:169], v[2:3], -v[0:1]
	ds_load_b128 v[0:3], v92
	v_add_f64_e64 v[168:169], v[78:79], -v[10:11]
	s_wait_dscnt 0x0
	v_add_f64_e64 v[4:5], v[0:1], -v[4:5]
	v_add_f64_e64 v[6:7], v[2:3], -v[6:7]
	s_delay_alu instid0(VALU_DEP_2) | instskip(NEXT) | instid1(VALU_DEP_2)
	v_add_f64_e32 v[16:17], v[4:5], v[168:169]
	v_add_f64_e64 v[18:19], v[6:7], -v[170:171]
	v_fma_f64 v[165:166], v[0:1], 2.0, -v[4:5]
	v_fma_f64 v[94:95], v[2:3], 2.0, -v[6:7]
	s_delay_alu instid0(VALU_DEP_4) | instskip(NEXT) | instid1(VALU_DEP_4)
	v_fma_f64 v[20:21], v[4:5], 2.0, -v[16:17]
	v_fma_f64 v[22:23], v[6:7], 2.0, -v[18:19]
	ds_load_b128 v[12:15], v92 offset:2304
	ds_load_b128 v[8:11], v92 offset:4608
	;; [unrolled: 1-line block ×5, first 2 shown]
	global_wb scope:SCOPE_SE
	s_wait_dscnt 0x0
	s_barrier_signal -1
	s_barrier_wait -1
	global_inv scope:SCOPE_SE
	ds_store_b128 v92, v[16:19] offset:10368
	ds_store_b128 v92, v[20:23] offset:3456
	v_fma_f64 v[16:17], v[76:77], 2.0, -v[170:171]
	v_fma_f64 v[18:19], v[78:79], 2.0, -v[168:169]
	v_add_f64_e64 v[76:77], v[80:81], -v[88:89]
	v_add_f64_e64 v[78:79], v[82:83], -v[90:91]
	s_delay_alu instid0(VALU_DEP_4) | instskip(NEXT) | instid1(VALU_DEP_4)
	v_add_f64_e64 v[16:17], v[165:166], -v[16:17]
	v_add_f64_e64 v[18:19], v[94:95], -v[18:19]
	s_delay_alu instid0(VALU_DEP_2) | instskip(NEXT) | instid1(VALU_DEP_2)
	v_fma_f64 v[20:21], v[165:166], 2.0, -v[16:17]
	v_fma_f64 v[22:23], v[94:95], 2.0, -v[18:19]
	ds_store_b128 v92, v[16:19] offset:6912
	ds_store_b128 v92, v[20:23]
	v_add_f64_e64 v[20:21], v[12:13], -v[84:85]
	v_add_f64_e64 v[22:23], v[14:15], -v[86:87]
	s_delay_alu instid0(VALU_DEP_2)
	v_fma_f64 v[16:17], v[12:13], 2.0, -v[20:21]
	v_fma_f64 v[12:13], v[80:81], 2.0, -v[76:77]
	scratch_load_b32 v80, off, off offset:1072 th:TH_LOAD_LU ; 4-byte Folded Reload
	v_fma_f64 v[18:19], v[14:15], 2.0, -v[22:23]
	v_fma_f64 v[14:15], v[82:83], 2.0, -v[78:79]
	v_add_f64_e64 v[12:13], v[16:17], -v[12:13]
	s_delay_alu instid0(VALU_DEP_2) | instskip(NEXT) | instid1(VALU_DEP_2)
	v_add_f64_e64 v[14:15], v[18:19], -v[14:15]
	v_fma_f64 v[16:17], v[16:17], 2.0, -v[12:13]
	s_delay_alu instid0(VALU_DEP_2) | instskip(SKIP_4) | instid1(VALU_DEP_2)
	v_fma_f64 v[18:19], v[18:19], 2.0, -v[14:15]
	s_wait_loadcnt 0x0
	ds_store_b128 v80, v[16:19]
	v_add_f64_e32 v[16:17], v[20:21], v[78:79]
	v_add_f64_e64 v[18:19], v[22:23], -v[76:77]
	v_fma_f64 v[20:21], v[20:21], 2.0, -v[16:17]
	s_delay_alu instid0(VALU_DEP_2)
	v_fma_f64 v[22:23], v[22:23], 2.0, -v[18:19]
	ds_store_b128 v80, v[20:23] offset:3456
	ds_store_b128 v80, v[12:15] offset:6912
	ds_store_b128 v80, v[16:19] offset:10368
	v_add_f64_e64 v[16:17], v[8:9], -v[68:69]
	v_add_f64_e64 v[18:19], v[10:11], -v[70:71]
	;; [unrolled: 1-line block ×4, first 2 shown]
	s_delay_alu instid0(VALU_DEP_4) | instskip(NEXT) | instid1(VALU_DEP_4)
	v_fma_f64 v[12:13], v[8:9], 2.0, -v[16:17]
	v_fma_f64 v[14:15], v[10:11], 2.0, -v[18:19]
	s_delay_alu instid0(VALU_DEP_4) | instskip(NEXT) | instid1(VALU_DEP_4)
	v_fma_f64 v[8:9], v[64:65], 2.0, -v[20:21]
	v_fma_f64 v[10:11], v[66:67], 2.0, -v[22:23]
	s_delay_alu instid0(VALU_DEP_2) | instskip(NEXT) | instid1(VALU_DEP_2)
	v_add_f64_e64 v[8:9], v[12:13], -v[8:9]
	v_add_f64_e64 v[10:11], v[14:15], -v[10:11]
	s_delay_alu instid0(VALU_DEP_2) | instskip(NEXT) | instid1(VALU_DEP_2)
	v_fma_f64 v[12:13], v[12:13], 2.0, -v[8:9]
	v_fma_f64 v[14:15], v[14:15], 2.0, -v[10:11]
	ds_store_b128 v92, v[12:15] offset:14976
	v_add_f64_e32 v[12:13], v[16:17], v[22:23]
	v_add_f64_e64 v[14:15], v[18:19], -v[20:21]
	s_delay_alu instid0(VALU_DEP_2) | instskip(NEXT) | instid1(VALU_DEP_2)
	v_fma_f64 v[16:17], v[16:17], 2.0, -v[12:13]
	v_fma_f64 v[18:19], v[18:19], 2.0, -v[14:15]
	ds_store_b128 v92, v[16:19] offset:18432
	ds_store_b128 v92, v[8:11] offset:21888
	ds_store_b128 v92, v[12:15] offset:25344
	scratch_load_b32 v20, off, off offset:1060 th:TH_LOAD_LU ; 4-byte Folded Reload
	v_add_f64_e64 v[12:13], v[4:5], -v[56:57]
	v_add_f64_e64 v[14:15], v[6:7], -v[58:59]
	;; [unrolled: 1-line block ×4, first 2 shown]
	s_delay_alu instid0(VALU_DEP_4) | instskip(NEXT) | instid1(VALU_DEP_4)
	v_fma_f64 v[8:9], v[4:5], 2.0, -v[12:13]
	v_fma_f64 v[10:11], v[6:7], 2.0, -v[14:15]
	s_delay_alu instid0(VALU_DEP_4) | instskip(NEXT) | instid1(VALU_DEP_4)
	v_fma_f64 v[4:5], v[52:53], 2.0, -v[16:17]
	v_fma_f64 v[6:7], v[54:55], 2.0, -v[18:19]
	s_delay_alu instid0(VALU_DEP_2) | instskip(NEXT) | instid1(VALU_DEP_2)
	v_add_f64_e64 v[4:5], v[8:9], -v[4:5]
	v_add_f64_e64 v[6:7], v[10:11], -v[6:7]
	s_delay_alu instid0(VALU_DEP_2) | instskip(NEXT) | instid1(VALU_DEP_2)
	v_fma_f64 v[8:9], v[8:9], 2.0, -v[4:5]
	v_fma_f64 v[10:11], v[10:11], 2.0, -v[6:7]
	s_wait_loadcnt 0x0
	ds_store_b128 v20, v[8:11] offset:27648
	v_add_f64_e32 v[8:9], v[12:13], v[18:19]
	v_add_f64_e64 v[10:11], v[14:15], -v[16:17]
	s_delay_alu instid0(VALU_DEP_2) | instskip(NEXT) | instid1(VALU_DEP_2)
	v_fma_f64 v[12:13], v[12:13], 2.0, -v[8:9]
	v_fma_f64 v[14:15], v[14:15], 2.0, -v[10:11]
	ds_store_b128 v20, v[12:15] offset:31104
	ds_store_b128 v20, v[4:7] offset:34560
	;; [unrolled: 1-line block ×3, first 2 shown]
	scratch_load_b32 v16, off, off offset:1064 th:TH_LOAD_LU ; 4-byte Folded Reload
	v_add_f64_e64 v[8:9], v[0:1], -v[44:45]
	v_add_f64_e64 v[10:11], v[2:3], -v[46:47]
	;; [unrolled: 1-line block ×4, first 2 shown]
	s_delay_alu instid0(VALU_DEP_4) | instskip(NEXT) | instid1(VALU_DEP_4)
	v_fma_f64 v[4:5], v[0:1], 2.0, -v[8:9]
	v_fma_f64 v[6:7], v[2:3], 2.0, -v[10:11]
	s_delay_alu instid0(VALU_DEP_4) | instskip(NEXT) | instid1(VALU_DEP_4)
	v_fma_f64 v[0:1], v[40:41], 2.0, -v[12:13]
	v_fma_f64 v[2:3], v[42:43], 2.0, -v[14:15]
	s_delay_alu instid0(VALU_DEP_2) | instskip(NEXT) | instid1(VALU_DEP_2)
	v_add_f64_e64 v[0:1], v[4:5], -v[0:1]
	v_add_f64_e64 v[2:3], v[6:7], -v[2:3]
	s_delay_alu instid0(VALU_DEP_2) | instskip(NEXT) | instid1(VALU_DEP_2)
	v_fma_f64 v[4:5], v[4:5], 2.0, -v[0:1]
	v_fma_f64 v[6:7], v[6:7], 2.0, -v[2:3]
	s_wait_loadcnt 0x0
	ds_store_b128 v16, v[4:7]
	v_add_f64_e32 v[4:5], v[8:9], v[14:15]
	v_add_f64_e64 v[6:7], v[10:11], -v[12:13]
	v_add_f64_e64 v[12:13], v[28:29], -v[36:37]
	;; [unrolled: 1-line block ×3, first 2 shown]
	s_delay_alu instid0(VALU_DEP_4) | instskip(NEXT) | instid1(VALU_DEP_4)
	v_fma_f64 v[8:9], v[8:9], 2.0, -v[4:5]
	v_fma_f64 v[10:11], v[10:11], 2.0, -v[6:7]
	ds_store_b128 v16, v[8:11] offset:3456
	ds_store_b128 v16, v[0:3] offset:6912
	;; [unrolled: 1-line block ×3, first 2 shown]
	scratch_load_b32 v16, off, off offset:1068 th:TH_LOAD_LU ; 4-byte Folded Reload
	v_add_f64_e64 v[8:9], v[24:25], -v[32:33]
	v_add_f64_e64 v[10:11], v[26:27], -v[34:35]
	v_fma_f64 v[0:1], v[28:29], 2.0, -v[12:13]
	v_fma_f64 v[2:3], v[30:31], 2.0, -v[14:15]
	s_delay_alu instid0(VALU_DEP_4) | instskip(NEXT) | instid1(VALU_DEP_4)
	v_fma_f64 v[4:5], v[24:25], 2.0, -v[8:9]
	v_fma_f64 v[6:7], v[26:27], 2.0, -v[10:11]
	s_delay_alu instid0(VALU_DEP_2) | instskip(NEXT) | instid1(VALU_DEP_2)
	v_add_f64_e64 v[0:1], v[4:5], -v[0:1]
	v_add_f64_e64 v[2:3], v[6:7], -v[2:3]
	s_delay_alu instid0(VALU_DEP_2) | instskip(NEXT) | instid1(VALU_DEP_2)
	v_fma_f64 v[4:5], v[4:5], 2.0, -v[0:1]
	v_fma_f64 v[6:7], v[6:7], 2.0, -v[2:3]
	s_wait_loadcnt 0x0
	ds_store_b128 v16, v[4:7] offset:41472
	v_add_f64_e32 v[4:5], v[8:9], v[14:15]
	v_add_f64_e64 v[6:7], v[10:11], -v[12:13]
	s_delay_alu instid0(VALU_DEP_2) | instskip(NEXT) | instid1(VALU_DEP_2)
	v_fma_f64 v[8:9], v[8:9], 2.0, -v[4:5]
	v_fma_f64 v[10:11], v[10:11], 2.0, -v[6:7]
	ds_store_b128 v16, v[8:11] offset:44928
	ds_store_b128 v16, v[0:3] offset:48384
	;; [unrolled: 1-line block ×3, first 2 shown]
	global_wb scope:SCOPE_SE
	s_wait_dscnt 0x0
	s_barrier_signal -1
	s_barrier_wait -1
	global_inv scope:SCOPE_SE
	ds_load_b128 v[0:3], v92 offset:13824
	s_wait_dscnt 0x0
	v_mul_f64_e32 v[4:5], v[182:183], v[2:3]
	s_delay_alu instid0(VALU_DEP_1) | instskip(SKIP_1) | instid1(VALU_DEP_1)
	v_fma_f64 v[20:21], v[180:181], v[0:1], v[4:5]
	v_mul_f64_e32 v[0:1], v[182:183], v[0:1]
	v_fma_f64 v[22:23], v[180:181], v[2:3], -v[0:1]
	ds_load_b128 v[0:3], v92 offset:27648
	s_wait_dscnt 0x0
	v_mul_f64_e32 v[4:5], v[178:179], v[2:3]
	s_delay_alu instid0(VALU_DEP_1) | instskip(SKIP_1) | instid1(VALU_DEP_1)
	v_fma_f64 v[4:5], v[176:177], v[0:1], v[4:5]
	v_mul_f64_e32 v[0:1], v[178:179], v[0:1]
	v_fma_f64 v[6:7], v[176:177], v[2:3], -v[0:1]
	ds_load_b128 v[0:3], v92 offset:41472
	s_wait_dscnt 0x0
	v_mul_f64_e32 v[8:9], v[174:175], v[2:3]
	s_delay_alu instid0(VALU_DEP_1) | instskip(SKIP_1) | instid1(VALU_DEP_2)
	v_fma_f64 v[8:9], v[172:173], v[0:1], v[8:9]
	v_mul_f64_e32 v[0:1], v[174:175], v[0:1]
	v_add_f64_e64 v[54:55], v[20:21], -v[8:9]
	s_delay_alu instid0(VALU_DEP_2) | instskip(SKIP_4) | instid1(VALU_DEP_2)
	v_fma_f64 v[10:11], v[172:173], v[2:3], -v[0:1]
	ds_load_b128 v[0:3], v92 offset:16128
	s_wait_dscnt 0x0
	v_mul_f64_e32 v[12:13], v[161:162], v[2:3]
	v_add_f64_e64 v[52:53], v[22:23], -v[10:11]
	v_fma_f64 v[24:25], v[159:160], v[0:1], v[12:13]
	v_mul_f64_e32 v[0:1], v[161:162], v[0:1]
	s_delay_alu instid0(VALU_DEP_1) | instskip(SKIP_3) | instid1(VALU_DEP_1)
	v_fma_f64 v[26:27], v[159:160], v[2:3], -v[0:1]
	ds_load_b128 v[0:3], v92 offset:29952
	s_wait_dscnt 0x0
	v_mul_f64_e32 v[12:13], v[157:158], v[2:3]
	v_fma_f64 v[12:13], v[155:156], v[0:1], v[12:13]
	v_mul_f64_e32 v[0:1], v[157:158], v[0:1]
	s_delay_alu instid0(VALU_DEP_1) | instskip(SKIP_3) | instid1(VALU_DEP_1)
	v_fma_f64 v[14:15], v[155:156], v[2:3], -v[0:1]
	ds_load_b128 v[0:3], v92 offset:43776
	s_wait_dscnt 0x0
	v_mul_f64_e32 v[16:17], v[153:154], v[2:3]
	v_fma_f64 v[16:17], v[151:152], v[0:1], v[16:17]
	v_mul_f64_e32 v[0:1], v[153:154], v[0:1]
	s_delay_alu instid0(VALU_DEP_2) | instskip(NEXT) | instid1(VALU_DEP_2)
	v_add_f64_e64 v[70:71], v[24:25], -v[16:17]
	v_fma_f64 v[18:19], v[151:152], v[2:3], -v[0:1]
	ds_load_b128 v[0:3], v92 offset:18432
	s_wait_dscnt 0x0
	v_mul_f64_e32 v[28:29], v[149:150], v[2:3]
	v_add_f64_e64 v[66:67], v[26:27], -v[18:19]
	s_delay_alu instid0(VALU_DEP_2) | instskip(SKIP_1) | instid1(VALU_DEP_1)
	v_fma_f64 v[28:29], v[147:148], v[0:1], v[28:29]
	v_mul_f64_e32 v[0:1], v[149:150], v[0:1]
	v_fma_f64 v[30:31], v[147:148], v[2:3], -v[0:1]
	ds_load_b128 v[0:3], v92 offset:32256
	s_wait_dscnt 0x0
	v_mul_f64_e32 v[32:33], v[145:146], v[2:3]
	s_delay_alu instid0(VALU_DEP_1) | instskip(SKIP_1) | instid1(VALU_DEP_1)
	v_fma_f64 v[60:61], v[143:144], v[0:1], v[32:33]
	v_mul_f64_e32 v[0:1], v[145:146], v[0:1]
	v_fma_f64 v[62:63], v[143:144], v[2:3], -v[0:1]
	ds_load_b128 v[0:3], v92 offset:46080
	s_wait_dscnt 0x0
	v_mul_f64_e32 v[32:33], v[141:142], v[2:3]
	s_delay_alu instid0(VALU_DEP_1) | instskip(SKIP_1) | instid1(VALU_DEP_2)
	v_fma_f64 v[72:73], v[139:140], v[0:1], v[32:33]
	v_mul_f64_e32 v[0:1], v[141:142], v[0:1]
	v_add_f64_e64 v[78:79], v[28:29], -v[72:73]
	s_delay_alu instid0(VALU_DEP_2) | instskip(SKIP_4) | instid1(VALU_DEP_2)
	v_fma_f64 v[74:75], v[139:140], v[2:3], -v[0:1]
	ds_load_b128 v[0:3], v92 offset:20736
	s_wait_dscnt 0x0
	v_mul_f64_e32 v[32:33], v[137:138], v[2:3]
	v_add_f64_e64 v[76:77], v[30:31], -v[74:75]
	v_fma_f64 v[32:33], v[135:136], v[0:1], v[32:33]
	v_mul_f64_e32 v[0:1], v[137:138], v[0:1]
	s_delay_alu instid0(VALU_DEP_1) | instskip(SKIP_3) | instid1(VALU_DEP_1)
	v_fma_f64 v[34:35], v[135:136], v[2:3], -v[0:1]
	ds_load_b128 v[0:3], v92 offset:34560
	s_wait_dscnt 0x0
	v_mul_f64_e32 v[36:37], v[133:134], v[2:3]
	v_fma_f64 v[80:81], v[131:132], v[0:1], v[36:37]
	v_mul_f64_e32 v[0:1], v[133:134], v[0:1]
	s_delay_alu instid0(VALU_DEP_1) | instskip(SKIP_3) | instid1(VALU_DEP_1)
	v_fma_f64 v[82:83], v[131:132], v[2:3], -v[0:1]
	ds_load_b128 v[0:3], v92 offset:48384
	s_wait_dscnt 0x0
	v_mul_f64_e32 v[36:37], v[129:130], v[2:3]
	v_fma_f64 v[86:87], v[127:128], v[0:1], v[36:37]
	v_mul_f64_e32 v[0:1], v[129:130], v[0:1]
	s_delay_alu instid0(VALU_DEP_2) | instskip(NEXT) | instid1(VALU_DEP_2)
	v_add_f64_e64 v[86:87], v[32:33], -v[86:87]
	v_fma_f64 v[84:85], v[127:128], v[2:3], -v[0:1]
	ds_load_b128 v[0:3], v92 offset:23040
	s_wait_dscnt 0x0
	v_mul_f64_e32 v[36:37], v[125:126], v[2:3]
	v_add_f64_e64 v[84:85], v[34:35], -v[84:85]
	s_delay_alu instid0(VALU_DEP_2) | instskip(SKIP_1) | instid1(VALU_DEP_1)
	v_fma_f64 v[36:37], v[123:124], v[0:1], v[36:37]
	v_mul_f64_e32 v[0:1], v[125:126], v[0:1]
	v_fma_f64 v[38:39], v[123:124], v[2:3], -v[0:1]
	ds_load_b128 v[0:3], v92 offset:36864
	s_wait_dscnt 0x0
	v_mul_f64_e32 v[40:41], v[121:122], v[2:3]
	s_delay_alu instid0(VALU_DEP_1) | instskip(SKIP_1) | instid1(VALU_DEP_1)
	v_fma_f64 v[88:89], v[119:120], v[0:1], v[40:41]
	v_mul_f64_e32 v[0:1], v[121:122], v[0:1]
	v_fma_f64 v[90:91], v[119:120], v[2:3], -v[0:1]
	ds_load_b128 v[0:3], v92 offset:50688
	s_wait_dscnt 0x0
	v_mul_f64_e32 v[40:41], v[117:118], v[2:3]
	s_delay_alu instid0(VALU_DEP_1) | instskip(SKIP_1) | instid1(VALU_DEP_1)
	;; [unrolled: 7-line block ×5, first 2 shown]
	v_fma_f64 v[58:59], v[103:104], v[0:1], v[44:45]
	v_mul_f64_e32 v[0:1], v[105:106], v[0:1]
	v_fma_f64 v[68:69], v[103:104], v[2:3], -v[0:1]
	ds_load_b128 v[0:3], v92
	v_add_f64_e64 v[103:104], v[40:41], -v[58:59]
	s_wait_dscnt 0x0
	v_add_f64_e64 v[48:49], v[0:1], -v[4:5]
	v_add_f64_e64 v[50:51], v[2:3], -v[6:7]
	;; [unrolled: 1-line block ×3, first 2 shown]
	s_delay_alu instid0(VALU_DEP_3) | instskip(NEXT) | instid1(VALU_DEP_3)
	v_add_f64_e32 v[4:5], v[48:49], v[52:53]
	v_add_f64_e64 v[6:7], v[50:51], -v[54:55]
	v_fma_f64 v[44:45], v[0:1], 2.0, -v[48:49]
	v_fma_f64 v[46:47], v[2:3], 2.0, -v[50:51]
	s_delay_alu instid0(VALU_DEP_4) | instskip(NEXT) | instid1(VALU_DEP_4)
	v_fma_f64 v[0:1], v[48:49], 2.0, -v[4:5]
	v_fma_f64 v[2:3], v[50:51], 2.0, -v[6:7]
	ds_store_b128 v92, v[4:7] offset:41472
	ds_load_b128 v[4:7], v92 offset:2304
	s_wait_dscnt 0x0
	v_add_f64_e64 v[12:13], v[4:5], -v[12:13]
	v_add_f64_e64 v[14:15], v[6:7], -v[14:15]
	s_delay_alu instid0(VALU_DEP_2) | instskip(NEXT) | instid1(VALU_DEP_2)
	v_add_f64_e32 v[8:9], v[12:13], v[66:67]
	v_add_f64_e64 v[10:11], v[14:15], -v[70:71]
	v_fma_f64 v[48:49], v[4:5], 2.0, -v[12:13]
	v_fma_f64 v[50:51], v[6:7], 2.0, -v[14:15]
	s_delay_alu instid0(VALU_DEP_4) | instskip(NEXT) | instid1(VALU_DEP_4)
	v_fma_f64 v[4:5], v[12:13], 2.0, -v[8:9]
	v_fma_f64 v[6:7], v[14:15], 2.0, -v[10:11]
	ds_store_b128 v92, v[8:11] offset:43776
	ds_load_b128 v[8:11], v92 offset:4608
	s_wait_dscnt 0x0
	v_add_f64_e64 v[16:17], v[8:9], -v[60:61]
	v_add_f64_e64 v[18:19], v[10:11], -v[62:63]
	s_delay_alu instid0(VALU_DEP_2) | instskip(NEXT) | instid1(VALU_DEP_2)
	;; [unrolled: 13-line block ×3, first 2 shown]
	v_add_f64_e32 v[16:17], v[80:81], v[84:85]
	v_add_f64_e64 v[18:19], v[82:83], -v[86:87]
	v_fma_f64 v[72:73], v[12:13], 2.0, -v[80:81]
	v_fma_f64 v[74:75], v[14:15], 2.0, -v[82:83]
	s_delay_alu instid0(VALU_DEP_4) | instskip(NEXT) | instid1(VALU_DEP_4)
	v_fma_f64 v[12:13], v[80:81], 2.0, -v[16:17]
	v_fma_f64 v[14:15], v[82:83], 2.0, -v[18:19]
	ds_store_b128 v92, v[16:19] offset:48384
	ds_load_b128 v[16:19], v92 offset:9216
	s_wait_dscnt 0x0
	v_add_f64_e64 v[97:98], v[16:17], -v[88:89]
	v_add_f64_e64 v[99:100], v[18:19], -v[90:91]
	;; [unrolled: 1-line block ×4, first 2 shown]
	s_delay_alu instid0(VALU_DEP_4) | instskip(NEXT) | instid1(VALU_DEP_4)
	v_fma_f64 v[80:81], v[16:17], 2.0, -v[97:98]
	v_fma_f64 v[82:83], v[18:19], 2.0, -v[99:100]
	s_delay_alu instid0(VALU_DEP_4) | instskip(NEXT) | instid1(VALU_DEP_4)
	v_add_f64_e32 v[93:94], v[97:98], v[88:89]
	v_add_f64_e64 v[95:96], v[99:100], -v[90:91]
	s_delay_alu instid0(VALU_DEP_2) | instskip(NEXT) | instid1(VALU_DEP_2)
	v_fma_f64 v[16:17], v[97:98], 2.0, -v[93:94]
	v_fma_f64 v[18:19], v[99:100], 2.0, -v[95:96]
	ds_store_b128 v92, v[93:96] offset:50688
	ds_load_b128 v[93:96], v92 offset:11520
	s_wait_dscnt 0x0
	v_add_f64_e64 v[97:98], v[93:94], -v[56:57]
	v_add_f64_e64 v[64:65], v[95:96], -v[64:65]
	s_delay_alu instid0(VALU_DEP_2) | instskip(NEXT) | instid1(VALU_DEP_2)
	v_add_f64_e32 v[56:57], v[97:98], v[68:69]
	v_add_f64_e64 v[58:59], v[64:65], -v[103:104]
	ds_store_b128 v92, v[56:59] offset:52992
	ds_store_b128 v92, v[0:3] offset:13824
	v_fma_f64 v[0:1], v[20:21], 2.0, -v[54:55]
	v_fma_f64 v[2:3], v[22:23], 2.0, -v[52:53]
	;; [unrolled: 1-line block ×6, first 2 shown]
	v_add_f64_e64 v[0:1], v[44:45], -v[0:1]
	v_add_f64_e64 v[2:3], v[46:47], -v[2:3]
	ds_store_b128 v92, v[0:3] offset:27648
	ds_store_b128 v92, v[4:7] offset:16128
	v_fma_f64 v[20:21], v[44:45], 2.0, -v[0:1]
	v_fma_f64 v[22:23], v[46:47], 2.0, -v[2:3]
	v_fma_f64 v[0:1], v[24:25], 2.0, -v[70:71]
	v_fma_f64 v[2:3], v[26:27], 2.0, -v[66:67]
	s_delay_alu instid0(VALU_DEP_2) | instskip(NEXT) | instid1(VALU_DEP_2)
	v_add_f64_e64 v[0:1], v[48:49], -v[0:1]
	v_add_f64_e64 v[2:3], v[50:51], -v[2:3]
	ds_store_b128 v92, v[0:3] offset:29952
	ds_store_b128 v92, v[8:11] offset:18432
	v_fma_f64 v[4:5], v[48:49], 2.0, -v[0:1]
	v_fma_f64 v[6:7], v[50:51], 2.0, -v[2:3]
	v_fma_f64 v[0:1], v[28:29], 2.0, -v[78:79]
	v_fma_f64 v[2:3], v[30:31], 2.0, -v[76:77]
	s_delay_alu instid0(VALU_DEP_2) | instskip(NEXT) | instid1(VALU_DEP_2)
	;; [unrolled: 9-line block ×5, first 2 shown]
	v_add_f64_e64 v[0:1], v[99:100], -v[0:1]
	v_add_f64_e64 v[2:3], v[101:102], -v[2:3]
	s_delay_alu instid0(VALU_DEP_2) | instskip(NEXT) | instid1(VALU_DEP_2)
	v_fma_f64 v[24:25], v[99:100], 2.0, -v[0:1]
	v_fma_f64 v[26:27], v[101:102], 2.0, -v[2:3]
	ds_store_b128 v92, v[0:3] offset:39168
	ds_store_b128 v92, v[20:23]
	ds_store_b128 v92, v[4:7] offset:2304
	ds_store_b128 v92, v[8:11] offset:4608
	;; [unrolled: 1-line block ×5, first 2 shown]
	global_wb scope:SCOPE_SE
	s_wait_dscnt 0x0
	s_barrier_signal -1
	s_barrier_wait -1
	global_inv scope:SCOPE_SE
	s_clause 0x1
	scratch_load_b128 v[6:9], off, off offset:44 th:TH_LOAD_LU
	scratch_load_b128 v[10:13], off, off offset:252 th:TH_LOAD_LU
	ds_load_b128 v[0:3], v92
	s_clause 0x5
	scratch_load_b128 v[20:23], off, off offset:268 th:TH_LOAD_LU
	scratch_load_b128 v[24:27], off, off offset:284 th:TH_LOAD_LU
	;; [unrolled: 1-line block ×6, first 2 shown]
	s_wait_loadcnt_dscnt 0x700
	v_mul_f64_e32 v[4:5], v[8:9], v[2:3]
	s_delay_alu instid0(VALU_DEP_1) | instskip(SKIP_1) | instid1(VALU_DEP_1)
	v_fma_f64 v[88:89], v[6:7], v[0:1], v[4:5]
	v_mul_f64_e32 v[0:1], v[8:9], v[0:1]
	v_fma_f64 v[90:91], v[6:7], v[2:3], -v[0:1]
	scratch_load_b128 v[6:9], off, off offset:60 th:TH_LOAD_LU ; 16-byte Folded Reload
	ds_load_b128 v[0:3], v92 offset:9216
	s_wait_loadcnt_dscnt 0x0
	v_mul_f64_e32 v[4:5], v[8:9], v[2:3]
	s_delay_alu instid0(VALU_DEP_1) | instskip(SKIP_1) | instid1(VALU_DEP_1)
	v_fma_f64 v[84:85], v[6:7], v[0:1], v[4:5]
	v_mul_f64_e32 v[0:1], v[8:9], v[0:1]
	v_fma_f64 v[86:87], v[6:7], v[2:3], -v[0:1]
	scratch_load_b128 v[6:9], off, off offset:92 th:TH_LOAD_LU ; 16-byte Folded Reload
	ds_load_b128 v[0:3], v92 offset:18432
	;; [unrolled: 8-line block ×13, first 2 shown]
	s_wait_loadcnt_dscnt 0x0
	v_mul_f64_e32 v[0:1], v[8:9], v[4:5]
	s_delay_alu instid0(VALU_DEP_1) | instskip(SKIP_1) | instid1(VALU_DEP_1)
	v_fma_f64 v[0:1], v[6:7], v[2:3], v[0:1]
	v_mul_f64_e32 v[2:3], v[8:9], v[2:3]
	v_fma_f64 v[2:3], v[6:7], v[4:5], -v[2:3]
	ds_load_b128 v[6:9], v92 offset:23040
	s_wait_dscnt 0x0
	v_mul_f64_e32 v[4:5], v[12:13], v[8:9]
	s_delay_alu instid0(VALU_DEP_1) | instskip(SKIP_1) | instid1(VALU_DEP_1)
	v_fma_f64 v[4:5], v[10:11], v[6:7], v[4:5]
	v_mul_f64_e32 v[6:7], v[12:13], v[6:7]
	v_fma_f64 v[6:7], v[10:11], v[8:9], -v[6:7]
	ds_load_b128 v[10:13], v92 offset:32256
	s_wait_dscnt 0x0
	;; [unrolled: 7-line block ×3, first 2 shown]
	v_mul_f64_e32 v[12:13], v[26:27], v[22:23]
	v_mul_f64_e32 v[16:17], v[26:27], v[20:21]
	scratch_load_b128 v[26:29], off, off offset:300 th:TH_LOAD_LU ; 16-byte Folded Reload
	v_fma_f64 v[12:13], v[24:25], v[20:21], v[12:13]
	v_fma_f64 v[16:17], v[24:25], v[22:23], -v[16:17]
	ds_load_b128 v[22:25], v92 offset:50688
	s_wait_loadcnt_dscnt 0x0
	v_mul_f64_e32 v[20:21], v[28:29], v[24:25]
	s_delay_alu instid0(VALU_DEP_1) | instskip(SKIP_1) | instid1(VALU_DEP_1)
	v_fma_f64 v[20:21], v[26:27], v[22:23], v[20:21]
	v_mul_f64_e32 v[22:23], v[28:29], v[22:23]
	v_fma_f64 v[22:23], v[26:27], v[24:25], -v[22:23]
	ds_load_b128 v[26:29], v92 offset:6912
	s_wait_dscnt 0x0
	v_mul_f64_e32 v[24:25], v[32:33], v[28:29]
	s_delay_alu instid0(VALU_DEP_1) | instskip(SKIP_1) | instid1(VALU_DEP_1)
	v_fma_f64 v[24:25], v[30:31], v[26:27], v[24:25]
	v_mul_f64_e32 v[26:27], v[32:33], v[26:27]
	v_fma_f64 v[26:27], v[30:31], v[28:29], -v[26:27]
	ds_load_b128 v[30:33], v92 offset:16128
	s_wait_dscnt 0x0
	v_mul_f64_e32 v[28:29], v[42:43], v[32:33]
	s_delay_alu instid0(VALU_DEP_1) | instskip(SKIP_1) | instid1(VALU_DEP_1)
	v_fma_f64 v[28:29], v[40:41], v[30:31], v[28:29]
	v_mul_f64_e32 v[30:31], v[42:43], v[30:31]
	v_fma_f64 v[30:31], v[40:41], v[32:33], -v[30:31]
	ds_load_b128 v[40:43], v92 offset:25344
	s_wait_dscnt 0x0
	v_mul_f64_e32 v[32:33], v[95:96], v[42:43]
	v_mul_f64_e32 v[34:35], v[95:96], v[40:41]
	s_delay_alu instid0(VALU_DEP_2) | instskip(NEXT) | instid1(VALU_DEP_2)
	v_fma_f64 v[32:33], v[93:94], v[40:41], v[32:33]
	v_fma_f64 v[34:35], v[93:94], v[42:43], -v[34:35]
	ds_load_b128 v[93:96], v92 offset:34560
	s_wait_dscnt 0x0
	v_mul_f64_e32 v[40:41], v[99:100], v[95:96]
	v_mul_f64_e32 v[42:43], v[99:100], v[93:94]
	s_delay_alu instid0(VALU_DEP_2) | instskip(NEXT) | instid1(VALU_DEP_2)
	v_fma_f64 v[40:41], v[97:98], v[93:94], v[40:41]
	v_fma_f64 v[42:43], v[97:98], v[95:96], -v[42:43]
	scratch_load_b128 v[97:100], off, off offset:380 th:TH_LOAD_LU ; 16-byte Folded Reload
	ds_load_b128 v[93:96], v92 offset:43776
	s_wait_loadcnt_dscnt 0x0
	v_mul_f64_e32 v[50:51], v[99:100], v[95:96]
	v_mul_f64_e32 v[54:55], v[99:100], v[93:94]
	s_delay_alu instid0(VALU_DEP_2) | instskip(NEXT) | instid1(VALU_DEP_2)
	v_fma_f64 v[50:51], v[97:98], v[93:94], v[50:51]
	v_fma_f64 v[54:55], v[97:98], v[95:96], -v[54:55]
	scratch_load_b128 v[98:101], off, off offset:12 th:TH_LOAD_LU ; 16-byte Folded Reload
	ds_load_b128 v[92:95], v92 offset:52992
	s_wait_loadcnt_dscnt 0x0
	v_mul_f64_e32 v[96:97], v[100:101], v[94:95]
	s_delay_alu instid0(VALU_DEP_1)
	v_fma_f64 v[96:97], v[98:99], v[92:93], v[96:97]
	v_mul_f64_e32 v[92:93], v[100:101], v[92:93]
	scratch_load_b32 v100, off, off offset:396 th:TH_LOAD_LU ; 4-byte Folded Reload
	v_fma_f64 v[92:93], v[98:99], v[94:95], -v[92:93]
	scratch_load_b64 v[98:99], off, off th:TH_LOAD_LU ; 8-byte Folded Reload
	s_wait_loadcnt 0x0
	v_mad_co_u64_u32 v[94:95], null, s6, v98, 0
	s_delay_alu instid0(VALU_DEP_1)
	v_mad_co_u64_u32 v[98:99], null, s7, v98, v[95:96]
	s_mov_b32 s6, 0xbda12f68
	s_mov_b32 s7, 0x3f32f684
	s_wait_alu 0xfffe
	v_mul_f64_e32 v[88:89], s[6:7], v[88:89]
	v_mul_f64_e32 v[90:91], s[6:7], v[90:91]
	;; [unrolled: 1-line block ×4, first 2 shown]
	v_mov_b32_e32 v95, v98
	v_mad_co_u64_u32 v[98:99], null, s4, v100, 0
	v_mul_f64_e32 v[80:81], s[6:7], v[80:81]
	v_mul_f64_e32 v[82:83], s[6:7], v[82:83]
	s_delay_alu instid0(VALU_DEP_4)
	v_lshlrev_b64_e32 v[94:95], 4, v[94:95]
	v_mul_f64_e32 v[76:77], s[6:7], v[76:77]
	v_mul_f64_e32 v[78:79], s[6:7], v[78:79]
	;; [unrolled: 1-line block ×3, first 2 shown]
	v_mad_co_u64_u32 v[99:100], null, s5, v100, v[99:100]
	v_add_co_u32 v100, vcc_lo, s0, v94
	s_wait_alu 0xfffd
	v_add_co_ci_u32_e32 v101, vcc_lo, s1, v95, vcc_lo
	s_mul_u64 s[0:1], s[4:5], 0x2400
	v_mul_f64_e32 v[70:71], s[6:7], v[70:71]
	s_delay_alu instid0(VALU_DEP_4)
	v_lshlrev_b64_e32 v[94:95], 4, v[98:99]
	v_mul_f64_e32 v[64:65], s[6:7], v[64:65]
	v_mul_f64_e32 v[66:67], s[6:7], v[66:67]
	;; [unrolled: 1-line block ×5, first 2 shown]
	v_add_co_u32 v94, vcc_lo, v100, v94
	s_wait_alu 0xfffd
	v_add_co_ci_u32_e32 v95, vcc_lo, v101, v95, vcc_lo
	v_mul_f64_e32 v[58:59], s[6:7], v[58:59]
	v_mul_f64_e32 v[36:37], s[6:7], v[36:37]
	;; [unrolled: 1-line block ×8, first 2 shown]
	global_store_b128 v[94:95], v[88:91], off
	s_wait_alu 0xfffe
	v_add_co_u32 v88, vcc_lo, v94, s0
	s_wait_alu 0xfffd
	v_add_co_ci_u32_e32 v89, vcc_lo, s1, v95, vcc_lo
	v_mul_f64_e32 v[8:9], s[6:7], v[8:9]
	v_mul_f64_e32 v[10:11], s[6:7], v[10:11]
	;; [unrolled: 1-line block ×3, first 2 shown]
	global_store_b128 v[88:89], v[84:87], off
	v_add_co_u32 v84, vcc_lo, v88, s0
	s_wait_alu 0xfffd
	v_add_co_ci_u32_e32 v85, vcc_lo, s1, v89, vcc_lo
	global_store_b128 v[84:85], v[80:83], off
	v_add_co_u32 v80, vcc_lo, v84, s0
	s_wait_alu 0xfffd
	v_add_co_ci_u32_e32 v81, vcc_lo, s1, v85, vcc_lo
	global_store_b128 v[80:81], v[76:79], off
	scratch_load_b32 v78, off, off offset:8 th:TH_LOAD_LU ; 4-byte Folded Reload
	s_wait_loadcnt 0x0
	v_mad_co_u64_u32 v[76:77], null, s4, v78, 0
	s_delay_alu instid0(VALU_DEP_1) | instskip(NEXT) | instid1(VALU_DEP_1)
	v_mad_co_u64_u32 v[77:78], null, s5, v78, v[77:78]
	v_lshlrev_b64_e32 v[76:77], 4, v[76:77]
	s_delay_alu instid0(VALU_DEP_1) | instskip(SKIP_1) | instid1(VALU_DEP_2)
	v_add_co_u32 v76, vcc_lo, v100, v76
	s_wait_alu 0xfffd
	v_add_co_ci_u32_e32 v77, vcc_lo, v101, v77, vcc_lo
	global_store_b128 v[76:77], v[68:71], off
	v_mul_f64_e32 v[68:69], s[6:7], v[72:73]
	v_mul_f64_e32 v[70:71], s[6:7], v[74:75]
	v_mad_co_u64_u32 v[72:73], null, 0x4800, s4, v[80:81]
	s_delay_alu instid0(VALU_DEP_1)
	v_mad_co_u64_u32 v[73:74], null, 0x4800, s5, v[73:74]
	global_store_b128 v[72:73], v[68:71], off
	v_add_co_u32 v68, vcc_lo, v72, s2
	s_wait_alu 0xfffd
	v_add_co_ci_u32_e32 v69, vcc_lo, s3, v73, vcc_lo
	global_store_b128 v[68:69], v[64:67], off
	v_add_co_u32 v64, vcc_lo, v68, s0
	s_wait_alu 0xfffd
	v_add_co_ci_u32_e32 v65, vcc_lo, s1, v69, vcc_lo
	;; [unrolled: 4-line block ×3, first 2 shown]
	global_store_b128 v[60:61], v[56:59], off
	v_mul_f64_e32 v[56:57], s[6:7], v[46:47]
	v_mul_f64_e32 v[58:59], s[6:7], v[52:53]
	;; [unrolled: 1-line block ×3, first 2 shown]
	v_add_co_u32 v52, vcc_lo, v60, s0
	s_wait_alu 0xfffd
	v_add_co_ci_u32_e32 v53, vcc_lo, s1, v61, vcc_lo
	s_delay_alu instid0(VALU_DEP_2) | instskip(SKIP_1) | instid1(VALU_DEP_2)
	v_add_co_u32 v48, vcc_lo, v52, s0
	s_wait_alu 0xfffd
	v_add_co_ci_u32_e32 v49, vcc_lo, s1, v53, vcc_lo
	global_store_b128 v[52:53], v[56:59], off
	global_store_b128 v[48:49], v[36:39], off
	v_mul_f64_e32 v[36:37], s[6:7], v[14:15]
	v_mul_f64_e32 v[38:39], s[6:7], v[18:19]
	v_add_co_u32 v52, vcc_lo, v48, s0
	s_wait_alu 0xfffd
	v_add_co_ci_u32_e32 v53, vcc_lo, s1, v49, vcc_lo
	v_mul_f64_e32 v[14:15], s[6:7], v[16:17]
	s_delay_alu instid0(VALU_DEP_3) | instskip(SKIP_1) | instid1(VALU_DEP_3)
	v_add_co_u32 v48, vcc_lo, v52, s2
	s_wait_alu 0xfffd
	v_add_co_ci_u32_e32 v49, vcc_lo, s3, v53, vcc_lo
	global_store_b128 v[52:53], v[44:47], off
	v_add_co_u32 v56, vcc_lo, v48, s0
	s_wait_alu 0xfffd
	v_add_co_ci_u32_e32 v57, vcc_lo, s1, v49, vcc_lo
	v_mul_f64_e32 v[16:17], s[6:7], v[20:21]
	s_delay_alu instid0(VALU_DEP_3) | instskip(SKIP_1) | instid1(VALU_DEP_3)
	v_add_co_u32 v58, vcc_lo, v56, s0
	s_wait_alu 0xfffd
	v_add_co_ci_u32_e32 v59, vcc_lo, s1, v57, vcc_lo
	v_mul_f64_e32 v[18:19], s[6:7], v[22:23]
	s_delay_alu instid0(VALU_DEP_3) | instskip(SKIP_1) | instid1(VALU_DEP_3)
	;; [unrolled: 5-line block ×3, first 2 shown]
	v_add_co_u32 v60, vcc_lo, v52, s0
	s_wait_alu 0xfffd
	v_add_co_ci_u32_e32 v61, vcc_lo, s1, v53, vcc_lo
	v_mul_f64_e32 v[22:23], s[6:7], v[26:27]
	v_mul_f64_e32 v[24:25], s[6:7], v[28:29]
	;; [unrolled: 1-line block ×7, first 2 shown]
	v_add_co_u32 v50, vcc_lo, v60, s0
	v_mul_f64_e32 v[34:35], s[6:7], v[42:43]
	v_mul_f64_e32 v[42:43], s[6:7], v[54:55]
	s_wait_alu 0xfffd
	v_add_co_ci_u32_e32 v51, vcc_lo, s1, v61, vcc_lo
	v_mul_f64_e32 v[44:45], s[6:7], v[96:97]
	v_mul_f64_e32 v[46:47], s[6:7], v[92:93]
	global_store_b128 v[48:49], v[36:39], off
	v_add_co_u32 v36, vcc_lo, v50, s2
	s_wait_alu 0xfffd
	v_add_co_ci_u32_e32 v37, vcc_lo, s3, v51, vcc_lo
	global_store_b128 v[56:57], v[0:3], off
	v_add_co_u32 v38, vcc_lo, v36, s0
	s_wait_alu 0xfffd
	v_add_co_ci_u32_e32 v39, vcc_lo, s1, v37, vcc_lo
	s_delay_alu instid0(VALU_DEP_2) | instskip(SKIP_1) | instid1(VALU_DEP_2)
	v_add_co_u32 v48, vcc_lo, v38, s0
	s_wait_alu 0xfffd
	v_add_co_ci_u32_e32 v49, vcc_lo, s1, v39, vcc_lo
	s_delay_alu instid0(VALU_DEP_2) | instskip(SKIP_1) | instid1(VALU_DEP_2)
	;; [unrolled: 4-line block ×4, first 2 shown]
	v_add_co_u32 v54, vcc_lo, v2, s0
	s_wait_alu 0xfffd
	v_add_co_ci_u32_e32 v55, vcc_lo, s1, v3, vcc_lo
	global_store_b128 v[58:59], v[4:7], off
	global_store_b128 v[52:53], v[8:11], off
	global_store_b128 v[60:61], v[12:15], off
	global_store_b128 v[50:51], v[16:19], off
	global_store_b128 v[36:37], v[20:23], off
	global_store_b128 v[38:39], v[24:27], off
	global_store_b128 v[48:49], v[28:31], off
	global_store_b128 v[0:1], v[32:35], off
	global_store_b128 v[2:3], v[40:43], off
	global_store_b128 v[54:55], v[44:47], off
.LBB0_2:
	s_nop 0
	s_sendmsg sendmsg(MSG_DEALLOC_VGPRS)
	s_endpgm
	.section	.rodata,"a",@progbits
	.p2align	6, 0x0
	.amdhsa_kernel bluestein_single_fwd_len3456_dim1_dp_op_CI_CI
		.amdhsa_group_segment_fixed_size 55296
		.amdhsa_private_segment_fixed_size 1080
		.amdhsa_kernarg_size 104
		.amdhsa_user_sgpr_count 2
		.amdhsa_user_sgpr_dispatch_ptr 0
		.amdhsa_user_sgpr_queue_ptr 0
		.amdhsa_user_sgpr_kernarg_segment_ptr 1
		.amdhsa_user_sgpr_dispatch_id 0
		.amdhsa_user_sgpr_private_segment_size 0
		.amdhsa_wavefront_size32 1
		.amdhsa_uses_dynamic_stack 0
		.amdhsa_enable_private_segment 1
		.amdhsa_system_sgpr_workgroup_id_x 1
		.amdhsa_system_sgpr_workgroup_id_y 0
		.amdhsa_system_sgpr_workgroup_id_z 0
		.amdhsa_system_sgpr_workgroup_info 0
		.amdhsa_system_vgpr_workitem_id 0
		.amdhsa_next_free_vgpr 256
		.amdhsa_next_free_sgpr 20
		.amdhsa_reserve_vcc 1
		.amdhsa_float_round_mode_32 0
		.amdhsa_float_round_mode_16_64 0
		.amdhsa_float_denorm_mode_32 3
		.amdhsa_float_denorm_mode_16_64 3
		.amdhsa_fp16_overflow 0
		.amdhsa_workgroup_processor_mode 1
		.amdhsa_memory_ordered 1
		.amdhsa_forward_progress 0
		.amdhsa_round_robin_scheduling 0
		.amdhsa_exception_fp_ieee_invalid_op 0
		.amdhsa_exception_fp_denorm_src 0
		.amdhsa_exception_fp_ieee_div_zero 0
		.amdhsa_exception_fp_ieee_overflow 0
		.amdhsa_exception_fp_ieee_underflow 0
		.amdhsa_exception_fp_ieee_inexact 0
		.amdhsa_exception_int_div_zero 0
	.end_amdhsa_kernel
	.text
.Lfunc_end0:
	.size	bluestein_single_fwd_len3456_dim1_dp_op_CI_CI, .Lfunc_end0-bluestein_single_fwd_len3456_dim1_dp_op_CI_CI
                                        ; -- End function
	.section	.AMDGPU.csdata,"",@progbits
; Kernel info:
; codeLenInByte = 30680
; NumSgprs: 22
; NumVgprs: 256
; ScratchSize: 1080
; MemoryBound: 0
; FloatMode: 240
; IeeeMode: 1
; LDSByteSize: 55296 bytes/workgroup (compile time only)
; SGPRBlocks: 2
; VGPRBlocks: 31
; NumSGPRsForWavesPerEU: 22
; NumVGPRsForWavesPerEU: 256
; Occupancy: 3
; WaveLimiterHint : 1
; COMPUTE_PGM_RSRC2:SCRATCH_EN: 1
; COMPUTE_PGM_RSRC2:USER_SGPR: 2
; COMPUTE_PGM_RSRC2:TRAP_HANDLER: 0
; COMPUTE_PGM_RSRC2:TGID_X_EN: 1
; COMPUTE_PGM_RSRC2:TGID_Y_EN: 0
; COMPUTE_PGM_RSRC2:TGID_Z_EN: 0
; COMPUTE_PGM_RSRC2:TIDIG_COMP_CNT: 0
	.text
	.p2alignl 7, 3214868480
	.fill 96, 4, 3214868480
	.type	__hip_cuid_2d4ea4a3443ae1e3,@object ; @__hip_cuid_2d4ea4a3443ae1e3
	.section	.bss,"aw",@nobits
	.globl	__hip_cuid_2d4ea4a3443ae1e3
__hip_cuid_2d4ea4a3443ae1e3:
	.byte	0                               ; 0x0
	.size	__hip_cuid_2d4ea4a3443ae1e3, 1

	.ident	"AMD clang version 19.0.0git (https://github.com/RadeonOpenCompute/llvm-project roc-6.4.0 25133 c7fe45cf4b819c5991fe208aaa96edf142730f1d)"
	.section	".note.GNU-stack","",@progbits
	.addrsig
	.addrsig_sym __hip_cuid_2d4ea4a3443ae1e3
	.amdgpu_metadata
---
amdhsa.kernels:
  - .args:
      - .actual_access:  read_only
        .address_space:  global
        .offset:         0
        .size:           8
        .value_kind:     global_buffer
      - .actual_access:  read_only
        .address_space:  global
        .offset:         8
        .size:           8
        .value_kind:     global_buffer
      - .actual_access:  read_only
        .address_space:  global
        .offset:         16
        .size:           8
        .value_kind:     global_buffer
      - .actual_access:  read_only
        .address_space:  global
        .offset:         24
        .size:           8
        .value_kind:     global_buffer
      - .actual_access:  read_only
        .address_space:  global
        .offset:         32
        .size:           8
        .value_kind:     global_buffer
      - .offset:         40
        .size:           8
        .value_kind:     by_value
      - .address_space:  global
        .offset:         48
        .size:           8
        .value_kind:     global_buffer
      - .address_space:  global
        .offset:         56
        .size:           8
        .value_kind:     global_buffer
      - .address_space:  global
        .offset:         64
        .size:           8
        .value_kind:     global_buffer
      - .address_space:  global
        .offset:         72
        .size:           8
        .value_kind:     global_buffer
      - .offset:         80
        .size:           4
        .value_kind:     by_value
      - .address_space:  global
        .offset:         88
        .size:           8
        .value_kind:     global_buffer
      - .address_space:  global
        .offset:         96
        .size:           8
        .value_kind:     global_buffer
    .group_segment_fixed_size: 55296
    .kernarg_segment_align: 8
    .kernarg_segment_size: 104
    .language:       OpenCL C
    .language_version:
      - 2
      - 0
    .max_flat_workgroup_size: 144
    .name:           bluestein_single_fwd_len3456_dim1_dp_op_CI_CI
    .private_segment_fixed_size: 1080
    .sgpr_count:     22
    .sgpr_spill_count: 0
    .symbol:         bluestein_single_fwd_len3456_dim1_dp_op_CI_CI.kd
    .uniform_work_group_size: 1
    .uses_dynamic_stack: false
    .vgpr_count:     256
    .vgpr_spill_count: 269
    .wavefront_size: 32
    .workgroup_processor_mode: 1
amdhsa.target:   amdgcn-amd-amdhsa--gfx1201
amdhsa.version:
  - 1
  - 2
...

	.end_amdgpu_metadata
